;; amdgpu-corpus repo=ROCm/rocFFT kind=compiled arch=gfx1030 opt=O3
	.text
	.amdgcn_target "amdgcn-amd-amdhsa--gfx1030"
	.amdhsa_code_object_version 6
	.protected	fft_rtc_fwd_len1071_factors_17_7_9_wgs_119_tpt_119_halfLds_dp_op_CI_CI_unitstride_sbrr_dirReg ; -- Begin function fft_rtc_fwd_len1071_factors_17_7_9_wgs_119_tpt_119_halfLds_dp_op_CI_CI_unitstride_sbrr_dirReg
	.globl	fft_rtc_fwd_len1071_factors_17_7_9_wgs_119_tpt_119_halfLds_dp_op_CI_CI_unitstride_sbrr_dirReg
	.p2align	8
	.type	fft_rtc_fwd_len1071_factors_17_7_9_wgs_119_tpt_119_halfLds_dp_op_CI_CI_unitstride_sbrr_dirReg,@function
fft_rtc_fwd_len1071_factors_17_7_9_wgs_119_tpt_119_halfLds_dp_op_CI_CI_unitstride_sbrr_dirReg: ; @fft_rtc_fwd_len1071_factors_17_7_9_wgs_119_tpt_119_halfLds_dp_op_CI_CI_unitstride_sbrr_dirReg
; %bb.0:
	s_clause 0x2
	s_load_dwordx4 s[12:15], s[4:5], 0x0
	s_load_dwordx4 s[8:11], s[4:5], 0x58
	;; [unrolled: 1-line block ×3, first 2 shown]
	v_mul_u32_u24_e32 v2, 0x227, v0
	v_mov_b32_e32 v1, 0
	v_mov_b32_e32 v68, 0
	;; [unrolled: 1-line block ×3, first 2 shown]
	v_add_nc_u32_sdwa v3, s6, v2 dst_sel:DWORD dst_unused:UNUSED_PAD src0_sel:DWORD src1_sel:WORD_1
	v_mov_b32_e32 v4, v1
	s_waitcnt lgkmcnt(0)
	v_cmp_lt_u64_e64 s0, s[14:15], 2
	s_and_b32 vcc_lo, exec_lo, s0
	s_cbranch_vccnz .LBB0_8
; %bb.1:
	s_load_dwordx2 s[0:1], s[4:5], 0x10
	v_mov_b32_e32 v68, 0
	v_mov_b32_e32 v69, 0
	s_add_u32 s2, s18, 8
	s_addc_u32 s3, s19, 0
	s_add_u32 s6, s16, 8
	s_addc_u32 s7, s17, 0
	v_mov_b32_e32 v81, v69
	v_mov_b32_e32 v80, v68
	s_mov_b64 s[22:23], 1
	s_waitcnt lgkmcnt(0)
	s_add_u32 s20, s0, 8
	s_addc_u32 s21, s1, 0
.LBB0_2:                                ; =>This Inner Loop Header: Depth=1
	s_load_dwordx2 s[24:25], s[20:21], 0x0
                                        ; implicit-def: $vgpr82_vgpr83
	s_mov_b32 s0, exec_lo
	s_waitcnt lgkmcnt(0)
	v_or_b32_e32 v2, s25, v4
	v_cmpx_ne_u64_e32 0, v[1:2]
	s_xor_b32 s1, exec_lo, s0
	s_cbranch_execz .LBB0_4
; %bb.3:                                ;   in Loop: Header=BB0_2 Depth=1
	v_cvt_f32_u32_e32 v2, s24
	v_cvt_f32_u32_e32 v5, s25
	s_sub_u32 s0, 0, s24
	s_subb_u32 s26, 0, s25
	v_fmac_f32_e32 v2, 0x4f800000, v5
	v_rcp_f32_e32 v2, v2
	v_mul_f32_e32 v2, 0x5f7ffffc, v2
	v_mul_f32_e32 v5, 0x2f800000, v2
	v_trunc_f32_e32 v5, v5
	v_fmac_f32_e32 v2, 0xcf800000, v5
	v_cvt_u32_f32_e32 v5, v5
	v_cvt_u32_f32_e32 v2, v2
	v_mul_lo_u32 v6, s0, v5
	v_mul_hi_u32 v7, s0, v2
	v_mul_lo_u32 v8, s26, v2
	v_add_nc_u32_e32 v6, v7, v6
	v_mul_lo_u32 v7, s0, v2
	v_add_nc_u32_e32 v6, v6, v8
	v_mul_hi_u32 v8, v2, v7
	v_mul_lo_u32 v9, v2, v6
	v_mul_hi_u32 v10, v2, v6
	v_mul_hi_u32 v11, v5, v7
	v_mul_lo_u32 v7, v5, v7
	v_mul_hi_u32 v12, v5, v6
	v_mul_lo_u32 v6, v5, v6
	v_add_co_u32 v8, vcc_lo, v8, v9
	v_add_co_ci_u32_e32 v9, vcc_lo, 0, v10, vcc_lo
	v_add_co_u32 v7, vcc_lo, v8, v7
	v_add_co_ci_u32_e32 v7, vcc_lo, v9, v11, vcc_lo
	v_add_co_ci_u32_e32 v8, vcc_lo, 0, v12, vcc_lo
	v_add_co_u32 v6, vcc_lo, v7, v6
	v_add_co_ci_u32_e32 v7, vcc_lo, 0, v8, vcc_lo
	v_add_co_u32 v2, vcc_lo, v2, v6
	v_add_co_ci_u32_e32 v5, vcc_lo, v5, v7, vcc_lo
	v_mul_hi_u32 v6, s0, v2
	v_mul_lo_u32 v8, s26, v2
	v_mul_lo_u32 v7, s0, v5
	v_add_nc_u32_e32 v6, v6, v7
	v_mul_lo_u32 v7, s0, v2
	v_add_nc_u32_e32 v6, v6, v8
	v_mul_hi_u32 v8, v2, v7
	v_mul_lo_u32 v9, v2, v6
	v_mul_hi_u32 v10, v2, v6
	v_mul_hi_u32 v11, v5, v7
	v_mul_lo_u32 v7, v5, v7
	v_mul_hi_u32 v12, v5, v6
	v_mul_lo_u32 v6, v5, v6
	v_add_co_u32 v8, vcc_lo, v8, v9
	v_add_co_ci_u32_e32 v9, vcc_lo, 0, v10, vcc_lo
	v_add_co_u32 v7, vcc_lo, v8, v7
	v_add_co_ci_u32_e32 v7, vcc_lo, v9, v11, vcc_lo
	v_add_co_ci_u32_e32 v8, vcc_lo, 0, v12, vcc_lo
	v_add_co_u32 v6, vcc_lo, v7, v6
	v_add_co_ci_u32_e32 v7, vcc_lo, 0, v8, vcc_lo
	v_add_co_u32 v2, vcc_lo, v2, v6
	v_add_co_ci_u32_e32 v9, vcc_lo, v5, v7, vcc_lo
	v_mul_hi_u32 v11, v3, v2
	v_mad_u64_u32 v[7:8], null, v4, v2, 0
	v_mad_u64_u32 v[5:6], null, v3, v9, 0
	;; [unrolled: 1-line block ×3, first 2 shown]
	v_add_co_u32 v2, vcc_lo, v11, v5
	v_add_co_ci_u32_e32 v5, vcc_lo, 0, v6, vcc_lo
	v_add_co_u32 v2, vcc_lo, v2, v7
	v_add_co_ci_u32_e32 v2, vcc_lo, v5, v8, vcc_lo
	v_add_co_ci_u32_e32 v5, vcc_lo, 0, v10, vcc_lo
	v_add_co_u32 v2, vcc_lo, v2, v9
	v_add_co_ci_u32_e32 v7, vcc_lo, 0, v5, vcc_lo
	v_mul_lo_u32 v8, s25, v2
	v_mad_u64_u32 v[5:6], null, s24, v2, 0
	v_mul_lo_u32 v9, s24, v7
	v_sub_co_u32 v5, vcc_lo, v3, v5
	v_add3_u32 v6, v6, v9, v8
	v_sub_nc_u32_e32 v8, v4, v6
	v_subrev_co_ci_u32_e64 v8, s0, s25, v8, vcc_lo
	v_add_co_u32 v9, s0, v2, 2
	v_add_co_ci_u32_e64 v10, s0, 0, v7, s0
	v_sub_co_u32 v11, s0, v5, s24
	v_sub_co_ci_u32_e32 v6, vcc_lo, v4, v6, vcc_lo
	v_subrev_co_ci_u32_e64 v8, s0, 0, v8, s0
	v_cmp_le_u32_e32 vcc_lo, s24, v11
	v_cmp_eq_u32_e64 s0, s25, v6
	v_cndmask_b32_e64 v11, 0, -1, vcc_lo
	v_cmp_le_u32_e32 vcc_lo, s25, v8
	v_cndmask_b32_e64 v12, 0, -1, vcc_lo
	v_cmp_le_u32_e32 vcc_lo, s24, v5
	;; [unrolled: 2-line block ×3, first 2 shown]
	v_cndmask_b32_e64 v13, 0, -1, vcc_lo
	v_cmp_eq_u32_e32 vcc_lo, s25, v8
	v_cndmask_b32_e64 v5, v13, v5, s0
	v_cndmask_b32_e32 v8, v12, v11, vcc_lo
	v_add_co_u32 v11, vcc_lo, v2, 1
	v_add_co_ci_u32_e32 v12, vcc_lo, 0, v7, vcc_lo
	v_cmp_ne_u32_e32 vcc_lo, 0, v8
	v_cndmask_b32_e32 v6, v12, v10, vcc_lo
	v_cndmask_b32_e32 v8, v11, v9, vcc_lo
	v_cmp_ne_u32_e32 vcc_lo, 0, v5
	v_cndmask_b32_e32 v83, v7, v6, vcc_lo
	v_cndmask_b32_e32 v82, v2, v8, vcc_lo
.LBB0_4:                                ;   in Loop: Header=BB0_2 Depth=1
	s_andn2_saveexec_b32 s0, s1
	s_cbranch_execz .LBB0_6
; %bb.5:                                ;   in Loop: Header=BB0_2 Depth=1
	v_cvt_f32_u32_e32 v2, s24
	s_sub_i32 s1, 0, s24
	v_mov_b32_e32 v83, v1
	v_rcp_iflag_f32_e32 v2, v2
	v_mul_f32_e32 v2, 0x4f7ffffe, v2
	v_cvt_u32_f32_e32 v2, v2
	v_mul_lo_u32 v5, s1, v2
	v_mul_hi_u32 v5, v2, v5
	v_add_nc_u32_e32 v2, v2, v5
	v_mul_hi_u32 v2, v3, v2
	v_mul_lo_u32 v5, v2, s24
	v_add_nc_u32_e32 v6, 1, v2
	v_sub_nc_u32_e32 v5, v3, v5
	v_subrev_nc_u32_e32 v7, s24, v5
	v_cmp_le_u32_e32 vcc_lo, s24, v5
	v_cndmask_b32_e32 v5, v5, v7, vcc_lo
	v_cndmask_b32_e32 v2, v2, v6, vcc_lo
	v_cmp_le_u32_e32 vcc_lo, s24, v5
	v_add_nc_u32_e32 v6, 1, v2
	v_cndmask_b32_e32 v82, v2, v6, vcc_lo
.LBB0_6:                                ;   in Loop: Header=BB0_2 Depth=1
	s_or_b32 exec_lo, exec_lo, s0
	v_mul_lo_u32 v2, v83, s24
	v_mul_lo_u32 v7, v82, s25
	s_load_dwordx2 s[0:1], s[6:7], 0x0
	v_mad_u64_u32 v[5:6], null, v82, s24, 0
	s_load_dwordx2 s[24:25], s[2:3], 0x0
	s_add_u32 s22, s22, 1
	s_addc_u32 s23, s23, 0
	s_add_u32 s2, s2, 8
	s_addc_u32 s3, s3, 0
	s_add_u32 s6, s6, 8
	v_add3_u32 v2, v6, v7, v2
	v_sub_co_u32 v3, vcc_lo, v3, v5
	s_addc_u32 s7, s7, 0
	s_add_u32 s20, s20, 8
	v_sub_co_ci_u32_e32 v2, vcc_lo, v4, v2, vcc_lo
	s_addc_u32 s21, s21, 0
	s_waitcnt lgkmcnt(0)
	v_mul_lo_u32 v4, s0, v2
	v_mul_lo_u32 v5, s1, v3
	v_mad_u64_u32 v[68:69], null, s0, v3, v[68:69]
	v_mul_lo_u32 v2, s24, v2
	v_mul_lo_u32 v6, s25, v3
	v_mad_u64_u32 v[80:81], null, s24, v3, v[80:81]
	v_cmp_ge_u64_e64 s0, s[22:23], s[14:15]
	v_add3_u32 v69, v5, v69, v4
	v_add3_u32 v81, v6, v81, v2
	s_and_b32 vcc_lo, exec_lo, s0
	s_cbranch_vccnz .LBB0_9
; %bb.7:                                ;   in Loop: Header=BB0_2 Depth=1
	v_mov_b32_e32 v3, v82
	v_mov_b32_e32 v4, v83
	s_branch .LBB0_2
.LBB0_8:
	v_mov_b32_e32 v81, v69
	v_mov_b32_e32 v83, v4
	;; [unrolled: 1-line block ×4, first 2 shown]
.LBB0_9:
	s_load_dwordx2 s[0:1], s[4:5], 0x28
	s_lshl_b64 s[4:5], s[14:15], 3
	v_mul_hi_u32 v1, 0x226b903, v0
	s_add_u32 s2, s18, s4
	s_addc_u32 s3, s19, s5
	v_mov_b32_e32 v84, 0
	s_load_dwordx2 s[2:3], s[2:3], 0x0
                                        ; implicit-def: $vgpr6_vgpr7
                                        ; implicit-def: $vgpr2_vgpr3
                                        ; implicit-def: $vgpr10_vgpr11
                                        ; implicit-def: $vgpr18_vgpr19
                                        ; implicit-def: $vgpr22_vgpr23
                                        ; implicit-def: $vgpr26_vgpr27
                                        ; implicit-def: $vgpr34_vgpr35
                                        ; implicit-def: $vgpr38_vgpr39
                                        ; implicit-def: $vgpr42_vgpr43
                                        ; implicit-def: $vgpr46_vgpr47
                                        ; implicit-def: $vgpr66_vgpr67
                                        ; implicit-def: $vgpr62_vgpr63
                                        ; implicit-def: $vgpr58_vgpr59
                                        ; implicit-def: $vgpr54_vgpr55
                                        ; implicit-def: $vgpr50_vgpr51
                                        ; implicit-def: $vgpr30_vgpr31
                                        ; implicit-def: $vgpr14_vgpr15
	v_mul_u32_u24_e32 v1, 0x77, v1
	v_sub_nc_u32_e32 v85, v0, v1
	s_waitcnt lgkmcnt(0)
	v_cmp_gt_u64_e32 vcc_lo, s[0:1], v[82:83]
	s_and_saveexec_b32 s1, vcc_lo
	s_cbranch_execz .LBB0_13
; %bb.10:
	s_mov_b32 s6, exec_lo
                                        ; implicit-def: $vgpr12_vgpr13
                                        ; implicit-def: $vgpr28_vgpr29
                                        ; implicit-def: $vgpr48_vgpr49
                                        ; implicit-def: $vgpr52_vgpr53
                                        ; implicit-def: $vgpr56_vgpr57
                                        ; implicit-def: $vgpr60_vgpr61
                                        ; implicit-def: $vgpr64_vgpr65
                                        ; implicit-def: $vgpr44_vgpr45
                                        ; implicit-def: $vgpr40_vgpr41
                                        ; implicit-def: $vgpr36_vgpr37
                                        ; implicit-def: $vgpr32_vgpr33
                                        ; implicit-def: $vgpr24_vgpr25
                                        ; implicit-def: $vgpr20_vgpr21
                                        ; implicit-def: $vgpr16_vgpr17
                                        ; implicit-def: $vgpr8_vgpr9
                                        ; implicit-def: $vgpr0_vgpr1
                                        ; implicit-def: $vgpr4_vgpr5
	v_cmpx_gt_u32_e32 63, v85
	s_cbranch_execz .LBB0_12
; %bb.11:
	s_add_u32 s4, s16, s4
	s_addc_u32 s5, s17, s5
	v_mov_b32_e32 v86, 0
	s_load_dwordx2 s[4:5], s[4:5], 0x0
	s_waitcnt lgkmcnt(0)
	v_mul_lo_u32 v2, s5, v82
	v_mul_lo_u32 v3, s4, v83
	v_mad_u64_u32 v[0:1], null, s4, v82, 0
	v_add3_u32 v1, v1, v3, v2
	v_lshlrev_b64 v[2:3], 4, v[68:69]
	v_lshlrev_b64 v[0:1], 4, v[0:1]
	v_add_co_u32 v4, s0, s8, v0
	v_add_co_ci_u32_e64 v5, s0, s9, v1, s0
	v_lshlrev_b64 v[0:1], 4, v[85:86]
	v_add_co_u32 v2, s0, v4, v2
	v_add_co_ci_u32_e64 v3, s0, v5, v3, s0
	v_add_co_u32 v0, s0, v2, v0
	v_add_co_ci_u32_e64 v1, s0, v3, v1, s0
	s_clause 0x1
	global_load_dwordx4 v[12:15], v[0:1], off
	global_load_dwordx4 v[28:31], v[0:1], off offset:1008
	v_add_co_u32 v2, s0, 0x800, v0
	v_add_co_ci_u32_e64 v3, s0, 0, v1, s0
	v_add_co_u32 v4, s0, 0x1000, v0
	v_add_co_ci_u32_e64 v5, s0, 0, v1, s0
	;; [unrolled: 2-line block ×7, first 2 shown]
	s_clause 0xe
	global_load_dwordx4 v[48:51], v[0:1], off offset:2016
	global_load_dwordx4 v[52:55], v[2:3], off offset:976
	;; [unrolled: 1-line block ×15, first 2 shown]
.LBB0_12:
	s_or_b32 exec_lo, exec_lo, s6
	v_mov_b32_e32 v84, v85
.LBB0_13:
	s_or_b32 exec_lo, exec_lo, s1
	s_waitcnt vmcnt(0)
	v_add_f64 v[68:69], v[4:5], v[28:29]
	s_mov_b32 s4, 0x3259b75e
	s_mov_b32 s6, 0x7faef3
	;; [unrolled: 1-line block ×10, first 2 shown]
	v_add_f64 v[72:73], v[30:31], -v[6:7]
	v_add_f64 v[70:71], v[0:1], v[48:49]
	s_mov_b32 s8, 0xeb564b22
	s_mov_b32 s46, 0xacd6c6b4
	s_mov_b32 s40, 0x923c349f
	s_mov_b32 s44, 0x4363dd80
	s_mov_b32 s30, 0x6c9a05f6
	s_mov_b32 s24, 0x2b2883cd
	s_mov_b32 s22, 0x370991
	s_mov_b32 s9, 0xbfefdd0d
	s_mov_b32 s47, 0x3fc7851a
	v_mul_f64 v[74:75], v[68:69], s[4:5]
	v_mul_f64 v[76:77], v[68:69], s[18:19]
	;; [unrolled: 1-line block ×5, first 2 shown]
	s_mov_b32 s41, 0xbfeec746
	s_mov_b32 s45, 0x3fe0d888
	;; [unrolled: 1-line block ×7, first 2 shown]
	v_add_f64 v[132:133], v[50:51], -v[2:3]
	v_mul_f64 v[110:111], v[70:71], s[6:7]
	v_mul_f64 v[114:115], v[70:71], s[14:15]
	;; [unrolled: 1-line block ×5, first 2 shown]
	v_add_f64 v[108:109], v[8:9], v[52:53]
	s_mov_b32 s50, 0x7c9e640b
	s_mov_b32 s42, 0x5d8e7cdc
	;; [unrolled: 1-line block ×3, first 2 shown]
	v_fma_f64 v[94:95], v[72:73], s[8:9], v[74:75]
	v_fma_f64 v[96:97], v[72:73], s[40:41], v[76:77]
	v_fma_f64 v[98:99], v[72:73], s[30:31], v[78:79]
	v_fma_f64 v[100:101], v[72:73], s[44:45], v[86:87]
	v_fma_f64 v[86:87], v[72:73], s[26:27], v[86:87]
	v_fma_f64 v[102:103], v[72:73], s[46:47], v[88:89]
	s_mov_b32 s17, 0xbfc7851a
	s_mov_b32 s35, 0x3feec746
	;; [unrolled: 1-line block ×9, first 2 shown]
	v_add_f64 v[162:163], v[54:55], -v[10:11]
	v_fma_f64 v[104:105], v[132:133], s[16:17], v[110:111]
	v_fma_f64 v[106:107], v[132:133], s[44:45], v[114:115]
	;; [unrolled: 1-line block ×7, first 2 shown]
	v_add_f64 v[94:95], v[12:13], v[94:95]
	v_add_f64 v[96:97], v[12:13], v[96:97]
	;; [unrolled: 1-line block ×6, first 2 shown]
	v_mul_f64 v[136:137], v[108:109], s[18:19]
	v_mul_f64 v[142:143], v[108:109], s[38:39]
	;; [unrolled: 1-line block ×5, first 2 shown]
	v_add_f64 v[100:101], v[16:17], v[56:57]
	s_mov_b32 s48, 0x2a9d6da3
	s_mov_b32 s37, 0x3fd71e95
	;; [unrolled: 1-line block ×6, first 2 shown]
	v_fma_f64 v[92:93], v[132:133], s[36:37], v[92:93]
	v_add_f64 v[166:167], v[58:59], -v[18:19]
	s_mov_b32 s55, 0x3fe9895b
	v_add_f64 v[88:89], v[12:13], v[88:89]
	v_add_f64 v[94:95], v[104:105], v[94:95]
	v_add_f64 v[96:97], v[106:107], v[96:97]
	v_add_f64 v[98:99], v[112:113], v[98:99]
	v_add_f64 v[106:107], v[118:119], v[122:123]
	v_add_f64 v[86:87], v[90:91], v[86:87]
	v_add_f64 v[90:91], v[120:121], v[102:103]
	v_fma_f64 v[120:121], v[162:163], s[34:35], v[136:137]
	v_fma_f64 v[122:123], v[162:163], s[48:49], v[142:143]
	;; [unrolled: 1-line block ×6, first 2 shown]
	v_mul_f64 v[118:119], v[100:101], s[14:15]
	v_mul_f64 v[138:139], v[100:101], s[20:21]
	v_add_f64 v[102:103], v[20:21], v[60:61]
	s_mov_b32 s54, s30
	v_mul_f64 v[104:105], v[100:101], s[22:23]
	v_mul_f64 v[112:113], v[100:101], s[24:25]
	;; [unrolled: 1-line block ×3, first 2 shown]
	v_add_f64 v[164:165], v[62:63], -v[22:23]
	s_mov_b32 s57, 0xbfe58eea
	v_add_f64 v[88:89], v[92:93], v[88:89]
	s_mov_b32 s56, s48
	v_add_f64 v[158:159], v[66:67], -v[26:27]
	v_cmp_gt_u32_e64 s1, 63, v85
	v_add_f64 v[92:93], v[120:121], v[94:95]
	v_add_f64 v[94:95], v[122:123], v[96:97]
	;; [unrolled: 1-line block ×3, first 2 shown]
	v_fma_f64 v[120:121], v[162:163], s[26:27], v[126:127]
	v_add_f64 v[86:87], v[124:125], v[86:87]
	v_add_f64 v[90:91], v[134:135], v[90:91]
	v_fma_f64 v[134:135], v[166:167], s[26:27], v[118:119]
	v_fma_f64 v[144:145], v[166:167], s[30:31], v[138:139]
	;; [unrolled: 1-line block ×3, first 2 shown]
	v_mul_f64 v[150:151], v[102:103], s[22:23]
	v_add_f64 v[98:99], v[130:131], v[106:107]
	v_fma_f64 v[126:127], v[166:167], s[36:37], v[104:105]
	v_fma_f64 v[130:131], v[166:167], s[50:51], v[112:113]
	v_fma_f64 v[146:147], v[166:167], s[56:57], v[140:141]
	v_mul_f64 v[122:123], v[102:103], s[24:25]
	v_mul_f64 v[124:125], v[102:103], s[6:7]
	;; [unrolled: 1-line block ×4, first 2 shown]
	v_add_f64 v[106:107], v[24:25], v[64:65]
	v_add_f64 v[88:89], v[120:121], v[88:89]
	;; [unrolled: 1-line block ×4, first 2 shown]
	v_fma_f64 v[134:135], v[166:167], s[48:49], v[140:141]
	v_add_f64 v[86:87], v[138:139], v[86:87]
	v_fma_f64 v[154:155], v[164:165], s[36:37], v[150:151]
	v_fma_f64 v[150:151], v[164:165], s[42:43], v[150:151]
	v_add_f64 v[92:93], v[126:127], v[92:93]
	v_add_f64 v[94:95], v[130:131], v[94:95]
	;; [unrolled: 1-line block ×4, first 2 shown]
	v_fma_f64 v[140:141], v[164:165], s[50:51], v[122:123]
	v_fma_f64 v[144:145], v[164:165], s[16:17], v[124:125]
	;; [unrolled: 1-line block ×4, first 2 shown]
	v_mul_f64 v[126:127], v[106:107], s[14:15]
	v_mul_f64 v[130:131], v[106:107], s[4:5]
	;; [unrolled: 1-line block ×7, first 2 shown]
	v_add_f64 v[88:89], v[134:135], v[88:89]
	v_add_f64 v[134:135], v[36:37], v[40:41]
	;; [unrolled: 1-line block ×3, first 2 shown]
	v_fma_f64 v[150:151], v[164:165], s[30:31], v[152:153]
	v_add_f64 v[98:99], v[154:155], v[98:99]
	v_add_f64 v[154:155], v[46:47], -v[34:35]
	v_add_f64 v[92:93], v[140:141], v[92:93]
	v_add_f64 v[94:95], v[144:145], v[94:95]
	;; [unrolled: 1-line block ×4, first 2 shown]
	v_fma_f64 v[152:153], v[158:159], s[26:27], v[126:127]
	v_fma_f64 v[156:157], v[158:159], s[52:53], v[130:131]
	;; [unrolled: 1-line block ×6, first 2 shown]
	v_mul_f64 v[140:141], v[120:121], s[20:21]
	v_mul_f64 v[144:145], v[120:121], s[22:23]
	;; [unrolled: 1-line block ×3, first 2 shown]
	v_fma_f64 v[168:169], v[158:159], s[28:29], v[168:169]
	v_mul_f64 v[184:185], v[134:135], s[18:19]
	v_mul_f64 v[186:187], v[134:135], s[4:5]
	v_add_f64 v[88:89], v[150:151], v[88:89]
	v_mul_f64 v[150:151], v[134:135], s[38:39]
	v_fma_f64 v[180:181], v[154:155], s[56:57], v[176:177]
	v_fma_f64 v[176:177], v[154:155], s[48:49], v[176:177]
	;; [unrolled: 1-line block ×4, first 2 shown]
	v_add_f64 v[92:93], v[152:153], v[92:93]
	v_add_f64 v[94:95], v[156:157], v[94:95]
	;; [unrolled: 1-line block ×6, first 2 shown]
	v_fma_f64 v[170:171], v[154:155], s[54:55], v[140:141]
	v_fma_f64 v[172:173], v[154:155], s[42:43], v[144:145]
	v_fma_f64 v[174:175], v[154:155], s[16:17], v[146:147]
	v_add_f64 v[160:161], v[42:43], -v[38:39]
	v_mul_f64 v[152:153], v[134:135], s[20:21]
	v_mul_f64 v[156:157], v[134:135], s[24:25]
	v_add_f64 v[88:89], v[168:169], v[88:89]
	v_add_f64 v[98:99], v[180:181], v[98:99]
	;; [unrolled: 1-line block ×7, first 2 shown]
	v_fma_f64 v[86:87], v[160:161], s[48:49], v[150:151]
	v_fma_f64 v[90:91], v[160:161], s[30:31], v[152:153]
	;; [unrolled: 1-line block ×7, first 2 shown]
	v_add_f64 v[178:179], v[178:179], v[88:89]
	v_add_f64 v[88:89], v[86:87], v[92:93]
	;; [unrolled: 1-line block ×8, first 2 shown]
	s_and_saveexec_b32 s0, s1
	s_cbranch_execz .LBB0_15
; %bb.14:
	v_add_f64 v[168:169], v[28:29], v[12:13]
	v_mul_f64 v[178:179], v[72:73], s[30:31]
	v_mul_f64 v[182:183], v[72:73], s[8:9]
	;; [unrolled: 1-line block ×21, first 2 shown]
	v_add_f64 v[168:169], v[48:49], v[168:169]
	v_add_f64 v[78:79], v[78:79], -v[178:179]
	v_add_f64 v[74:75], v[74:75], -v[182:183]
	;; [unrolled: 1-line block ×3, first 2 shown]
	v_fma_f64 v[178:179], v[68:69], s[24:25], -v[194:195]
	v_fma_f64 v[182:183], v[68:69], s[38:39], -v[196:197]
	v_fma_f64 v[184:185], v[68:69], s[24:25], v[194:195]
	v_fma_f64 v[194:195], v[68:69], s[38:39], v[196:197]
	v_fma_f64 v[196:197], v[68:69], s[22:23], -v[72:73]
	v_fma_f64 v[68:69], v[68:69], s[22:23], v[72:73]
	v_add_f64 v[116:117], v[116:117], -v[176:177]
	v_add_f64 v[114:115], v[114:115], -v[190:191]
	;; [unrolled: 1-line block ×3, first 2 shown]
	v_fma_f64 v[176:177], v[70:71], s[20:21], v[202:203]
	v_fma_f64 v[188:189], v[70:71], s[20:21], -v[202:203]
	v_fma_f64 v[190:191], v[70:71], s[4:5], v[206:207]
	v_fma_f64 v[202:203], v[70:71], s[4:5], -v[206:207]
	;; [unrolled: 2-line block ×3, first 2 shown]
	v_mul_f64 v[210:211], v[166:167], s[16:17]
	v_add_f64 v[148:149], v[148:149], -v[174:175]
	v_add_f64 v[142:143], v[142:143], -v[186:187]
	v_add_f64 v[168:169], v[52:53], v[168:169]
	v_add_f64 v[78:79], v[12:13], v[78:79]
	;; [unrolled: 1-line block ×10, first 2 shown]
	v_add_f64 v[136:137], v[136:137], -v[192:193]
	v_fma_f64 v[174:175], v[108:109], s[6:7], v[200:201]
	v_fma_f64 v[186:187], v[108:109], s[6:7], -v[200:201]
	v_fma_f64 v[200:201], v[108:109], s[20:21], -v[204:205]
	v_mul_f64 v[172:173], v[166:167], s[26:27]
	v_fma_f64 v[192:193], v[108:109], s[20:21], v[204:205]
	v_mul_f64 v[166:167], v[166:167], s[8:9]
	v_fma_f64 v[204:205], v[108:109], s[24:25], v[162:163]
	v_fma_f64 v[108:109], v[108:109], s[24:25], -v[162:163]
	v_mul_f64 v[170:171], v[164:165], s[52:53]
	v_mul_f64 v[212:213], v[164:165], s[50:51]
	;; [unrolled: 1-line block ×3, first 2 shown]
	v_add_f64 v[168:169], v[56:57], v[168:169]
	v_add_f64 v[78:79], v[116:117], v[78:79]
	;; [unrolled: 1-line block ×10, first 2 shown]
	v_mul_f64 v[220:221], v[164:165], s[44:45]
	v_mul_f64 v[72:73], v[164:165], s[40:41]
	v_add_f64 v[112:113], v[112:113], -v[180:181]
	v_add_f64 v[104:105], v[104:105], -v[198:199]
	v_fma_f64 v[180:181], v[100:101], s[18:19], -v[208:209]
	v_fma_f64 v[184:185], v[100:101], s[6:7], -v[210:211]
	v_mul_f64 v[214:215], v[164:165], s[16:17]
	v_add_f64 v[118:119], v[118:119], -v[172:173]
	v_fma_f64 v[172:173], v[100:101], s[18:19], v[208:209]
	v_fma_f64 v[182:183], v[100:101], s[6:7], v[210:211]
	;; [unrolled: 1-line block ×3, first 2 shown]
	v_fma_f64 v[100:101], v[100:101], s[4:5], -v[166:167]
	v_add_f64 v[168:169], v[60:61], v[168:169]
	v_add_f64 v[78:79], v[148:149], v[78:79]
	;; [unrolled: 1-line block ×10, first 2 shown]
	v_mul_f64 v[216:217], v[158:159], s[26:27]
	v_mul_f64 v[164:165], v[158:159], s[52:53]
	;; [unrolled: 1-line block ×6, first 2 shown]
	v_add_f64 v[128:129], v[128:129], -v[170:171]
	v_add_f64 v[122:123], v[122:123], -v[212:213]
	v_fma_f64 v[158:159], v[102:103], s[38:39], v[218:219]
	v_fma_f64 v[166:167], v[102:103], s[14:15], v[220:221]
	v_fma_f64 v[170:171], v[102:103], s[14:15], -v[220:221]
	v_fma_f64 v[174:175], v[102:103], s[18:19], v[72:73]
	v_add_f64 v[168:169], v[64:65], v[168:169]
	v_fma_f64 v[72:73], v[102:103], s[18:19], -v[72:73]
	v_add_f64 v[74:75], v[104:105], v[74:75]
	v_add_f64 v[124:125], v[124:125], -v[214:215]
	v_add_f64 v[76:77], v[112:113], v[76:77]
	v_add_f64 v[104:105], v[184:185], v[114:115]
	v_add_f64 v[78:79], v[118:119], v[78:79]
	v_add_f64 v[112:113], v[182:183], v[132:133]
	v_add_f64 v[70:71], v[100:101], v[70:71]
	v_add_f64 v[12:13], v[188:189], v[12:13]
	v_mul_f64 v[68:69], v[154:155], s[54:55]
	v_mul_f64 v[196:197], v[154:155], s[42:43]
	v_mul_f64 v[114:115], v[154:155], s[28:29]
	v_add_f64 v[118:119], v[138:139], -v[222:223]
	v_add_f64 v[130:131], v[130:131], -v[164:165]
	;; [unrolled: 1-line block ×3, first 2 shown]
	v_fma_f64 v[138:139], v[106:107], s[22:23], -v[176:177]
	v_fma_f64 v[164:165], v[106:107], s[18:19], -v[178:179]
	v_mul_f64 v[224:225], v[154:155], s[16:17]
	v_fma_f64 v[132:133], v[106:107], s[22:23], v[176:177]
	v_mul_f64 v[142:143], v[160:161], s[30:31]
	v_mul_f64 v[148:149], v[160:161], s[28:29]
	v_add_f64 v[168:169], v[44:45], v[168:169]
	v_add_f64 v[74:75], v[122:123], v[74:75]
	v_mul_f64 v[122:123], v[160:161], s[36:37]
	v_add_f64 v[76:77], v[124:125], v[76:77]
	v_add_f64 v[104:105], v[170:171], v[104:105]
	;; [unrolled: 1-line block ×6, first 2 shown]
	v_add_f64 v[68:69], v[140:141], -v[68:69]
	v_mul_f64 v[124:125], v[160:161], s[16:17]
	v_add_f64 v[128:129], v[146:147], -v[224:225]
	v_add_f64 v[168:169], v[40:41], v[168:169]
	v_add_f64 v[74:75], v[126:127], v[74:75]
	v_add_f64 v[76:77], v[130:131], v[76:77]
	v_add_f64 v[104:105], v[164:165], v[104:105]
	v_add_f64 v[78:79], v[118:119], v[78:79]
	v_fma_f64 v[130:131], v[134:135], s[22:23], v[122:123]
	v_fma_f64 v[122:123], v[134:135], s[22:23], -v[122:123]
	v_add_f64 v[118:119], v[152:153], -v[142:143]
	v_add_f64 v[168:169], v[36:37], v[168:169]
	v_add_f64 v[68:69], v[68:69], v[74:75]
	;; [unrolled: 1-line block ×4, first 2 shown]
	v_mul_f64 v[168:169], v[160:161], s[48:49]
	v_add_f64 v[108:109], v[24:25], v[162:163]
	v_fma_f64 v[162:163], v[102:103], s[38:39], -v[218:219]
	v_add_f64 v[102:103], v[180:181], v[110:111]
	v_add_f64 v[110:111], v[172:173], v[116:117]
	v_mul_f64 v[116:117], v[154:155], s[26:27]
	v_fma_f64 v[172:173], v[106:107], s[20:21], v[136:137]
	v_add_f64 v[100:101], v[20:21], v[108:109]
	v_mul_f64 v[108:109], v[154:155], s[8:9]
	v_add_f64 v[102:103], v[162:163], v[102:103]
	v_fma_f64 v[154:155], v[106:107], s[18:19], v[178:179]
	v_add_f64 v[110:111], v[158:159], v[110:111]
	v_fma_f64 v[106:107], v[106:107], s[20:21], -v[136:137]
	v_add_f64 v[136:137], v[144:145], -v[196:197]
	v_fma_f64 v[144:145], v[120:121], s[24:25], v[114:115]
	v_fma_f64 v[114:115], v[120:121], s[24:25], -v[114:115]
	v_fma_f64 v[146:147], v[120:121], s[14:15], v[116:117]
	v_fma_f64 v[116:117], v[120:121], s[14:15], -v[116:117]
	v_add_f64 v[12:13], v[172:173], v[12:13]
	v_add_f64 v[72:73], v[16:17], v[100:101]
	v_mul_f64 v[100:101], v[160:161], s[26:27]
	v_fma_f64 v[140:141], v[120:121], s[4:5], v[108:109]
	v_fma_f64 v[108:109], v[120:121], s[4:5], -v[108:109]
	v_add_f64 v[102:103], v[138:139], v[102:103]
	v_add_f64 v[110:111], v[132:133], v[110:111]
	;; [unrolled: 1-line block ×4, first 2 shown]
	v_add_f64 v[120:121], v[150:151], -v[168:169]
	v_add_f64 v[76:77], v[136:137], v[76:77]
	v_add_f64 v[106:107], v[156:157], -v[148:149]
	v_fma_f64 v[132:133], v[134:135], s[6:7], v[124:125]
	v_fma_f64 v[124:125], v[134:135], s[6:7], -v[124:125]
	v_add_f64 v[12:13], v[146:147], v[12:13]
	v_add_f64 v[72:73], v[8:9], v[72:73]
	v_fma_f64 v[126:127], v[134:135], s[14:15], v[100:101]
	v_fma_f64 v[100:101], v[134:135], s[14:15], -v[100:101]
	v_add_f64 v[74:75], v[108:109], v[102:103]
	v_add_f64 v[102:103], v[114:115], v[104:105]
	;; [unrolled: 1-line block ×8, first 2 shown]
	v_mad_u32_u24 v106, 0x88, v85, 0
	v_add_f64 v[12:13], v[132:133], v[12:13]
	v_add_f64 v[72:73], v[0:1], v[72:73]
	;; [unrolled: 1-line block ×8, first 2 shown]
	ds_write2_b64 v106, v[98:99], v[96:97] offset0:8 offset1:9
	ds_write2_b64 v106, v[94:95], v[92:93] offset0:10 offset1:11
	;; [unrolled: 1-line block ×7, first 2 shown]
	ds_write2_b64 v106, v[72:73], v[70:71] offset1:1
	ds_write_b64 v106, v[12:13] offset:128
.LBB0_15:
	s_or_b32 exec_lo, exec_lo, s0
	v_lshl_add_u32 v162, v85, 3, 0
	s_waitcnt lgkmcnt(0)
	s_barrier
	buffer_gl0_inv
	v_cmp_gt_u32_e64 s0, 34, v85
	v_add_nc_u32_e32 v12, 0x800, v162
	v_add_nc_u32_e32 v13, 0x1000, v162
	ds_read2_b64 v[68:71], v162 offset1:153
	ds_read2_b64 v[76:79], v12 offset0:50 offset1:203
	ds_read2_b64 v[72:75], v13 offset0:100 offset1:253
	ds_read_b64 v[12:13], v162 offset:7344
	s_and_saveexec_b32 s4, s0
	s_cbranch_execz .LBB0_17
; %bb.16:
	v_add_nc_u32_e32 v86, 0x1400, v162
	v_add_nc_u32_e32 v87, 0xc00, v162
	;; [unrolled: 1-line block ×3, first 2 shown]
	ds_read2_b64 v[92:95], v86 offset0:91 offset1:244
	ds_read2_b64 v[96:99], v87 offset0:41 offset1:194
	;; [unrolled: 1-line block ×3, first 2 shown]
	ds_read_b64 v[88:89], v162 offset:8296
	s_waitcnt lgkmcnt(3)
	v_mov_b32_e32 v90, v94
	v_mov_b32_e32 v91, v95
	s_waitcnt lgkmcnt(2)
	v_mov_b32_e32 v94, v98
	v_mov_b32_e32 v95, v99
	;; [unrolled: 3-line block ×3, first 2 shown]
	v_mov_b32_e32 v99, v103
	v_mov_b32_e32 v87, v101
.LBB0_17:
	s_or_b32 exec_lo, exec_lo, s4
	v_add_f64 v[100:101], v[28:29], -v[4:5]
	s_mov_b32 s36, 0x923c349f
	s_mov_b32 s24, 0x6c9a05f6
	;; [unrolled: 1-line block ×8, first 2 shown]
	v_add_f64 v[4:5], v[6:7], v[30:31]
	v_add_f64 v[106:107], v[48:49], -v[0:1]
	s_mov_b32 s4, 0x3259b75e
	s_mov_b32 s16, 0xc61f0d01
	;; [unrolled: 1-line block ×11, first 2 shown]
	v_mul_f64 v[48:49], v[100:101], s[8:9]
	v_mul_f64 v[102:103], v[100:101], s[36:37]
	;; [unrolled: 1-line block ×5, first 2 shown]
	s_mov_b32 s39, 0x3feec746
	s_mov_b32 s29, 0x3feca52d
	;; [unrolled: 1-line block ×5, first 2 shown]
	v_add_f64 v[0:1], v[2:3], v[50:51]
	v_add_f64 v[126:127], v[52:53], -v[8:9]
	v_mul_f64 v[112:113], v[106:107], s[20:21]
	v_mul_f64 v[114:115], v[106:107], s[40:41]
	;; [unrolled: 1-line block ×5, first 2 shown]
	s_mov_b32 s26, 0x2b2883cd
	s_mov_b32 s46, 0x2a9d6da3
	;; [unrolled: 1-line block ×5, first 2 shown]
	v_fma_f64 v[120:121], v[4:5], s[4:5], -v[48:49]
	v_fma_f64 v[122:123], v[4:5], s[16:17], -v[102:103]
	;; [unrolled: 1-line block ×3, first 2 shown]
	v_fma_f64 v[128:129], v[4:5], s[14:15], v[28:29]
	v_fma_f64 v[28:29], v[4:5], s[14:15], -v[28:29]
	v_fma_f64 v[130:131], v[4:5], s[18:19], v[110:111]
	s_mov_b32 s31, 0x3fedd6d0
	s_mov_b32 s43, 0xbfd71e95
	;; [unrolled: 1-line block ×3, first 2 shown]
	v_add_f64 v[8:9], v[10:11], v[54:55]
	v_fma_f64 v[110:111], v[4:5], s[18:19], -v[110:111]
	v_mul_f64 v[52:53], v[126:127], s[38:39]
	v_mul_f64 v[108:109], v[126:127], s[46:47]
	v_fma_f64 v[134:135], v[0:1], s[18:19], -v[112:113]
	v_fma_f64 v[138:139], v[0:1], s[14:15], -v[114:115]
	v_fma_f64 v[140:141], v[0:1], s[16:17], -v[116:117]
	v_fma_f64 v[142:143], v[0:1], s[26:27], v[118:119]
	v_fma_f64 v[118:119], v[0:1], s[26:27], -v[118:119]
	v_fma_f64 v[144:145], v[0:1], s[30:31], v[132:133]
	v_mul_f64 v[136:137], v[126:127], s[42:43]
	v_mul_f64 v[146:147], v[126:127], s[8:9]
	;; [unrolled: 1-line block ×3, first 2 shown]
	v_add_f64 v[120:121], v[14:15], v[120:121]
	v_add_f64 v[122:123], v[14:15], v[122:123]
	;; [unrolled: 1-line block ×6, first 2 shown]
	v_add_f64 v[154:155], v[56:57], -v[16:17]
	s_mov_b32 s44, 0x75d4884
	s_mov_b32 s45, 0x3fe7a5f6
	;; [unrolled: 1-line block ×4, first 2 shown]
	v_fma_f64 v[16:17], v[0:1], s[30:31], -v[132:133]
	v_fma_f64 v[56:57], v[8:9], s[16:17], -v[52:53]
	;; [unrolled: 1-line block ×3, first 2 shown]
	v_add_f64 v[152:153], v[14:15], v[110:111]
	v_add_f64 v[110:111], v[18:19], v[58:59]
	v_add_f64 v[156:157], v[60:61], -v[20:21]
	s_mov_b32 s54, s24
	s_mov_b32 s52, s8
	v_add_f64 v[158:159], v[64:65], -v[24:25]
	s_mov_b32 s51, 0xbfe58eea
	s_mov_b32 s50, s46
	v_add_f64 v[120:121], v[134:135], v[120:121]
	v_add_f64 v[122:123], v[138:139], v[122:123]
	;; [unrolled: 1-line block ×6, first 2 shown]
	v_fma_f64 v[138:139], v[8:9], s[30:31], -v[136:137]
	v_fma_f64 v[140:141], v[8:9], s[4:5], v[146:147]
	v_fma_f64 v[144:145], v[8:9], s[14:15], v[148:149]
	v_mul_f64 v[130:131], v[154:155], s[48:49]
	v_fma_f64 v[142:143], v[8:9], s[4:5], -v[146:147]
	v_mul_f64 v[128:129], v[154:155], s[34:35]
	v_mul_f64 v[150:151], v[154:155], s[6:7]
	;; [unrolled: 1-line block ×4, first 2 shown]
	v_add_f64 v[16:17], v[16:17], v[152:153]
	v_mul_f64 v[163:164], v[156:157], s[42:43]
	v_mul_f64 v[165:166], v[156:157], s[24:25]
	s_waitcnt lgkmcnt(0)
	v_mul_f64 v[169:170], v[158:159], s[20:21]
	v_mul_f64 v[171:172], v[158:159], s[28:29]
	s_barrier
	v_add_f64 v[20:21], v[56:57], v[120:121]
	v_add_f64 v[56:57], v[132:133], v[122:123]
	v_fma_f64 v[132:133], v[8:9], s[14:15], -v[148:149]
	v_mul_f64 v[120:121], v[156:157], s[48:49]
	buffer_gl0_inv
	v_add_f64 v[60:61], v[138:139], v[124:125]
	v_add_f64 v[122:123], v[140:141], v[134:135]
	;; [unrolled: 1-line block ×3, first 2 shown]
	v_fma_f64 v[138:139], v[110:111], s[26:27], -v[130:131]
	v_add_f64 v[118:119], v[22:23], v[62:63]
	v_mul_f64 v[140:141], v[156:157], s[20:21]
	v_add_f64 v[28:29], v[142:143], v[28:29]
	v_fma_f64 v[134:135], v[110:111], s[30:31], -v[128:129]
	v_fma_f64 v[142:143], v[110:111], s[14:15], -v[150:151]
	v_fma_f64 v[148:149], v[110:111], s[22:23], v[146:147]
	v_fma_f64 v[146:147], v[110:111], s[22:23], -v[146:147]
	v_fma_f64 v[152:153], v[110:111], s[44:45], v[160:161]
	v_mul_f64 v[144:145], v[156:157], s[52:53]
	v_add_f64 v[16:17], v[132:133], v[16:17]
	v_fma_f64 v[132:133], v[110:111], s[44:45], -v[160:161]
	v_add_f64 v[160:161], v[44:45], -v[32:33]
	v_add_f64 v[44:45], v[34:35], v[46:47]
	v_add_f64 v[24:25], v[138:139], v[56:57]
	v_fma_f64 v[167:168], v[118:119], s[22:23], v[165:166]
	v_fma_f64 v[138:139], v[118:119], s[18:19], -v[140:141]
	v_add_f64 v[20:21], v[134:135], v[20:21]
	v_add_f64 v[56:57], v[142:143], v[60:61]
	;; [unrolled: 1-line block ×5, first 2 shown]
	v_fma_f64 v[134:135], v[118:119], s[26:27], -v[120:121]
	v_fma_f64 v[148:149], v[118:119], s[4:5], -v[144:145]
	v_fma_f64 v[152:153], v[118:119], s[30:31], v[163:164]
	v_fma_f64 v[163:164], v[118:119], s[30:31], -v[163:164]
	v_add_f64 v[122:123], v[26:27], v[66:67]
	v_mul_f64 v[124:125], v[158:159], s[6:7]
	v_mul_f64 v[142:143], v[158:159], s[52:53]
	;; [unrolled: 1-line block ×3, first 2 shown]
	v_add_f64 v[16:17], v[132:133], v[16:17]
	v_mul_f64 v[175:176], v[160:161], s[46:47]
	v_mul_f64 v[177:178], v[160:161], s[36:37]
	v_add_f64 v[24:25], v[138:139], v[24:25]
	v_fma_f64 v[138:139], v[118:119], s[22:23], -v[165:166]
	v_add_f64 v[20:21], v[134:135], v[20:21]
	v_add_f64 v[32:33], v[148:149], v[56:57]
	;; [unrolled: 1-line block ×5, first 2 shown]
	v_fma_f64 v[148:149], v[122:123], s[14:15], -v[124:125]
	v_fma_f64 v[163:164], v[122:123], s[4:5], -v[142:143]
	;; [unrolled: 1-line block ×3, first 2 shown]
	v_fma_f64 v[167:168], v[122:123], s[18:19], v[169:170]
	v_fma_f64 v[169:170], v[122:123], s[18:19], -v[169:170]
	v_fma_f64 v[173:174], v[122:123], s[26:27], v[171:172]
	v_mul_f64 v[56:57], v[160:161], s[54:55]
	v_mul_f64 v[60:61], v[160:161], s[42:43]
	;; [unrolled: 1-line block ×3, first 2 shown]
	v_add_f64 v[152:153], v[40:41], -v[36:37]
	v_fma_f64 v[36:37], v[122:123], s[26:27], -v[171:172]
	v_add_f64 v[16:17], v[138:139], v[16:17]
	v_fma_f64 v[171:172], v[44:45], s[44:45], v[175:176]
	v_add_f64 v[20:21], v[148:149], v[20:21]
	v_add_f64 v[24:25], v[163:164], v[24:25]
	;; [unrolled: 1-line block ×6, first 2 shown]
	v_fma_f64 v[165:166], v[44:45], s[22:23], -v[56:57]
	v_fma_f64 v[167:168], v[44:45], s[30:31], -v[60:61]
	v_fma_f64 v[169:170], v[44:45], s[18:19], -v[64:65]
	v_fma_f64 v[173:174], v[44:45], s[44:45], -v[175:176]
	v_fma_f64 v[175:176], v[44:45], s[16:17], v[177:178]
	v_add_f64 v[148:149], v[38:39], v[42:43]
	v_mul_f64 v[138:139], v[152:153], s[46:47]
	v_mul_f64 v[134:135], v[152:153], s[24:25]
	;; [unrolled: 1-line block ×5, first 2 shown]
	v_fma_f64 v[177:178], v[44:45], s[16:17], -v[177:178]
	v_add_f64 v[16:17], v[36:37], v[16:17]
	v_add_f64 v[36:37], v[171:172], v[40:41]
	;; [unrolled: 1-line block ×7, first 2 shown]
	v_fma_f64 v[28:29], v[148:149], s[44:45], -v[138:139]
	v_fma_f64 v[165:166], v[148:149], s[22:23], -v[134:135]
	;; [unrolled: 1-line block ×3, first 2 shown]
	v_fma_f64 v[169:170], v[148:149], s[16:17], v[179:180]
	v_fma_f64 v[171:172], v[148:149], s[16:17], -v[179:180]
	v_fma_f64 v[173:174], v[148:149], s[4:5], v[181:182]
	v_fma_f64 v[175:176], v[148:149], s[4:5], -v[181:182]
	v_add_f64 v[177:178], v[177:178], v[16:17]
	v_add_f64 v[20:21], v[28:29], v[20:21]
	;; [unrolled: 1-line block ×8, first 2 shown]
	s_and_saveexec_b32 s33, s1
	s_cbranch_execz .LBB0_19
; %bb.18:
	v_add_f64 v[30:31], v[30:31], v[14:15]
	v_mul_f64 v[175:176], v[100:101], s[42:43]
	v_mul_f64 v[177:178], v[100:101], s[50:51]
	;; [unrolled: 1-line block ×8, first 2 shown]
	s_mov_b32 s49, 0x3fc7851a
	s_mov_b32 s48, s20
	v_mul_f64 v[165:166], v[8:9], s[16:17]
	v_mul_f64 v[167:168], v[8:9], s[44:45]
	;; [unrolled: 1-line block ×11, first 2 shown]
	v_add_f64 v[30:31], v[50:51], v[30:31]
	v_mul_f64 v[50:51], v[4:5], s[4:5]
	v_fma_f64 v[209:210], v[4:5], s[30:31], v[175:176]
	v_fma_f64 v[211:212], v[4:5], s[44:45], v[177:178]
	v_fma_f64 v[177:178], v[4:5], s[44:45], -v[177:178]
	v_fma_f64 v[213:214], v[4:5], s[26:27], v[100:101]
	v_mul_f64 v[191:192], v[44:45], s[22:23]
	v_mul_f64 v[193:194], v[44:45], s[30:31]
	;; [unrolled: 1-line block ×5, first 2 shown]
	v_add_f64 v[52:53], v[165:166], v[52:53]
	v_add_f64 v[108:109], v[167:168], v[108:109]
	;; [unrolled: 1-line block ×3, first 2 shown]
	v_mul_f64 v[205:206], v[148:149], s[26:27]
	v_add_f64 v[30:31], v[54:55], v[30:31]
	v_mul_f64 v[54:55], v[4:5], s[16:17]
	v_add_f64 v[48:49], v[50:51], v[48:49]
	v_add_f64 v[56:57], v[191:192], v[56:57]
	;; [unrolled: 1-line block ×5, first 2 shown]
	v_mul_f64 v[58:59], v[4:5], s[22:23]
	v_add_f64 v[50:51], v[54:55], v[102:103]
	v_fma_f64 v[102:103], v[0:1], s[44:45], v[195:196]
	v_add_f64 v[48:49], v[14:15], v[48:49]
	v_add_f64 v[30:31], v[62:63], v[30:31]
	v_mul_f64 v[62:63], v[0:1], s[18:19]
	v_add_f64 v[54:55], v[58:59], v[104:105]
	v_fma_f64 v[58:59], v[4:5], s[26:27], -v[100:101]
	v_fma_f64 v[4:5], v[4:5], s[30:31], -v[175:176]
	v_mul_f64 v[100:101], v[126:127], s[48:49]
	v_fma_f64 v[104:105], v[0:1], s[44:45], -v[195:196]
	v_fma_f64 v[175:176], v[0:1], s[4:5], -v[199:200]
	v_fma_f64 v[195:196], v[0:1], s[22:23], v[106:107]
	v_add_f64 v[50:51], v[14:15], v[50:51]
	v_add_f64 v[30:31], v[66:67], v[30:31]
	v_mul_f64 v[66:67], v[0:1], s[14:15]
	v_add_f64 v[62:63], v[62:63], v[112:113]
	v_add_f64 v[112:113], v[14:15], v[209:210]
	;; [unrolled: 1-line block ×5, first 2 shown]
	v_fma_f64 v[165:166], v[8:9], s[18:19], v[100:101]
	v_add_f64 v[30:31], v[46:47], v[30:31]
	v_add_f64 v[66:67], v[66:67], v[114:115]
	;; [unrolled: 1-line block ×4, first 2 shown]
	v_mul_f64 v[62:63], v[156:157], s[46:47]
	v_mul_f64 v[46:47], v[122:123], s[4:5]
	v_add_f64 v[4:5], v[104:105], v[4:5]
	v_add_f64 v[30:31], v[42:43], v[30:31]
	v_mul_f64 v[42:43], v[126:127], s[24:25]
	v_fma_f64 v[126:127], v[0:1], s[4:5], v[199:200]
	v_fma_f64 v[0:1], v[0:1], s[22:23], -v[106:107]
	v_add_f64 v[106:107], v[163:164], v[116:117]
	v_add_f64 v[116:117], v[14:15], v[177:178]
	;; [unrolled: 1-line block ×3, first 2 shown]
	v_mul_f64 v[14:15], v[154:155], s[8:9]
	v_fma_f64 v[177:178], v[8:9], s[26:27], v[207:208]
	v_fma_f64 v[199:200], v[8:9], s[26:27], -v[207:208]
	v_add_f64 v[50:51], v[66:67], v[50:51]
	v_add_f64 v[48:49], v[52:53], v[48:49]
	;; [unrolled: 1-line block ×4, first 2 shown]
	v_mul_f64 v[38:39], v[154:155], s[20:21]
	v_mul_f64 v[154:155], v[154:155], s[38:39]
	v_fma_f64 v[207:208], v[8:9], s[22:23], v[42:43]
	v_fma_f64 v[42:43], v[8:9], s[22:23], -v[42:43]
	v_fma_f64 v[8:9], v[8:9], s[18:19], -v[100:101]
	v_add_f64 v[100:101], v[102:103], v[112:113]
	v_add_f64 v[102:103], v[126:127], v[114:115]
	;; [unrolled: 1-line block ×6, first 2 shown]
	v_mul_f64 v[58:59], v[156:157], s[40:41]
	v_fma_f64 v[66:67], v[110:111], s[4:5], v[14:15]
	v_add_f64 v[116:117], v[171:172], v[128:129]
	v_add_f64 v[126:127], v[173:174], v[130:131]
	;; [unrolled: 1-line block ×4, first 2 shown]
	v_fma_f64 v[14:15], v[110:111], s[4:5], -v[14:15]
	v_add_f64 v[4:5], v[199:200], v[4:5]
	v_fma_f64 v[130:131], v[118:119], s[44:45], v[62:63]
	v_fma_f64 v[62:63], v[118:119], s[44:45], -v[62:63]
	v_add_f64 v[30:31], v[34:35], v[30:31]
	v_mul_f64 v[34:35], v[156:157], s[36:37]
	v_fma_f64 v[104:105], v[110:111], s[18:19], v[38:39]
	v_fma_f64 v[38:39], v[110:111], s[18:19], -v[38:39]
	v_fma_f64 v[106:107], v[110:111], s[16:17], v[154:155]
	v_fma_f64 v[110:111], v[110:111], s[16:17], -v[154:155]
	v_add_f64 v[100:101], v[177:178], v[100:101]
	v_add_f64 v[102:103], v[207:208], v[102:103]
	;; [unrolled: 1-line block ×6, first 2 shown]
	v_mul_f64 v[54:55], v[158:159], s[42:43]
	v_fma_f64 v[114:115], v[118:119], s[14:15], v[58:59]
	v_fma_f64 v[58:59], v[118:119], s[14:15], -v[58:59]
	v_add_f64 v[48:49], v[116:117], v[48:49]
	v_add_f64 v[50:51], v[126:127], v[50:51]
	;; [unrolled: 1-line block ×5, first 2 shown]
	v_mul_f64 v[14:15], v[160:161], s[6:7]
	v_add_f64 v[8:9], v[26:27], v[30:31]
	v_mul_f64 v[26:27], v[158:159], s[24:25]
	v_mul_f64 v[30:31], v[158:159], s[38:39]
	v_fma_f64 v[108:109], v[118:119], s[16:17], v[34:35]
	v_fma_f64 v[34:35], v[118:119], s[16:17], -v[34:35]
	v_add_f64 v[118:119], v[181:182], v[120:121]
	v_add_f64 v[66:67], v[66:67], v[100:101]
	;; [unrolled: 1-line block ×8, first 2 shown]
	v_mul_f64 v[102:103], v[160:161], s[8:9]
	v_fma_f64 v[110:111], v[122:123], s[30:31], v[54:55]
	v_add_f64 v[112:113], v[187:188], v[124:125]
	v_fma_f64 v[54:55], v[122:123], s[30:31], -v[54:55]
	v_add_f64 v[8:9], v[22:23], v[8:9]
	v_mul_f64 v[22:23], v[160:161], s[28:29]
	v_fma_f64 v[104:105], v[122:123], s[22:23], v[26:27]
	v_fma_f64 v[106:107], v[122:123], s[16:17], v[30:31]
	v_fma_f64 v[30:31], v[122:123], s[16:17], -v[30:31]
	v_add_f64 v[48:49], v[118:119], v[48:49]
	v_add_f64 v[66:67], v[108:109], v[66:67]
	;; [unrolled: 1-line block ×8, first 2 shown]
	v_fma_f64 v[26:27], v[122:123], s[22:23], -v[26:27]
	v_add_f64 v[4:5], v[34:35], v[4:5]
	v_mul_f64 v[34:35], v[152:153], s[34:35]
	v_mul_f64 v[58:59], v[152:153], s[6:7]
	v_fma_f64 v[62:63], v[44:45], s[14:15], v[14:15]
	v_fma_f64 v[114:115], v[44:45], s[4:5], v[102:103]
	v_fma_f64 v[14:15], v[44:45], s[14:15], -v[14:15]
	v_add_f64 v[8:9], v[18:19], v[8:9]
	v_mul_f64 v[18:19], v[152:153], s[20:21]
	v_fma_f64 v[108:109], v[44:45], s[26:27], v[22:23]
	v_fma_f64 v[22:23], v[44:45], s[26:27], -v[22:23]
	v_fma_f64 v[44:45], v[44:45], s[4:5], -v[102:103]
	v_add_f64 v[102:103], v[205:206], v[132:133]
	v_add_f64 v[66:67], v[104:105], v[66:67]
	;; [unrolled: 1-line block ×10, first 2 shown]
	v_fma_f64 v[26:27], v[148:149], s[30:31], v[34:35]
	v_fma_f64 v[34:35], v[148:149], s[30:31], -v[34:35]
	v_fma_f64 v[50:51], v[148:149], s[14:15], v[58:59]
	v_fma_f64 v[52:53], v[148:149], s[14:15], -v[58:59]
	v_add_f64 v[54:55], v[201:202], v[138:139]
	v_add_f64 v[58:59], v[203:204], v[134:135]
	;; [unrolled: 1-line block ×3, first 2 shown]
	v_fma_f64 v[10:11], v[148:149], s[18:19], v[18:19]
	v_fma_f64 v[18:19], v[148:149], s[18:19], -v[18:19]
	v_add_f64 v[62:63], v[62:63], v[66:67]
	v_add_f64 v[66:67], v[108:109], v[100:101]
	;; [unrolled: 1-line block ×20, first 2 shown]
	v_lshl_add_u32 v6, v85, 7, v162
	ds_write2_b64 v6, v[40:41], v[36:37] offset0:8 offset1:9
	ds_write2_b64 v6, v[32:33], v[28:29] offset0:10 offset1:11
	;; [unrolled: 1-line block ×7, first 2 shown]
	ds_write2_b64 v6, v[2:3], v[8:9] offset1:1
	ds_write_b64 v6, v[4:5] offset:128
.LBB0_19:
	s_or_b32 exec_lo, exec_lo, s33
	v_add_nc_u32_e32 v4, 0x800, v162
	v_add_nc_u32_e32 v5, 0x1000, v162
	s_waitcnt lgkmcnt(0)
	s_barrier
	buffer_gl0_inv
	ds_read2_b64 v[0:3], v162 offset1:153
	ds_read2_b64 v[8:11], v4 offset0:50 offset1:203
	ds_read2_b64 v[4:7], v5 offset0:100 offset1:253
	ds_read_b64 v[34:35], v162 offset:7344
	s_and_saveexec_b32 s1, s0
	s_cbranch_execz .LBB0_21
; %bb.20:
	v_add_nc_u32_e32 v14, 0x1400, v162
	v_add_nc_u32_e32 v18, 0xc00, v162
	;; [unrolled: 1-line block ×3, first 2 shown]
	ds_read2_b64 v[14:17], v14 offset0:91 offset1:244
	ds_read2_b64 v[30:33], v18 offset0:41 offset1:194
	;; [unrolled: 1-line block ×3, first 2 shown]
	ds_read_b64 v[20:21], v162 offset:8296
	s_waitcnt lgkmcnt(3)
	v_mov_b32_e32 v25, v17
	v_mov_b32_e32 v24, v16
	v_mov_b32_e32 v29, v15
	s_waitcnt lgkmcnt(2)
	v_mov_b32_e32 v37, v31
	s_waitcnt lgkmcnt(1)
	v_mov_b32_e32 v16, v38
	v_mov_b32_e32 v28, v14
	;; [unrolled: 1-line block ×4, first 2 shown]
.LBB0_21:
	s_or_b32 exec_lo, exec_lo, s1
	v_and_b32_e32 v14, 0xff, v85
	v_mov_b32_e32 v15, 6
	s_mov_b32 s4, 0x37e14327
	s_mov_b32 s8, 0xe976ee23
	;; [unrolled: 1-line block ×3, first 2 shown]
	v_mul_lo_u16 v14, 0xf1, v14
	s_mov_b32 s9, 0xbfe11646
	s_mov_b32 s6, 0x429ad128
	;; [unrolled: 1-line block ×4, first 2 shown]
	v_lshrrev_b16 v128, 12, v14
	s_mov_b32 s15, 0x3fac98ee
	s_mov_b32 s16, 0xaaaaaaaa
	s_mov_b32 s22, 0xb247c609
	s_mov_b32 s17, 0xbff2aaaa
	v_mul_lo_u16 v14, v128, 17
	s_mov_b32 s18, 0x5476071b
	s_mov_b32 s23, 0x3fd5d0dc
	;; [unrolled: 1-line block ×4, first 2 shown]
	v_sub_nc_u16 v129, v85, v14
	s_mov_b32 s25, 0xbfd5d0dc
	s_mov_b32 s20, s18
	;; [unrolled: 1-line block ×4, first 2 shown]
	v_mul_u32_u24_sdwa v14, v129, v15 dst_sel:DWORD dst_unused:UNUSED_PAD src0_sel:BYTE_0 src1_sel:DWORD
	s_mov_b32 s27, 0x3fdc38aa
	v_lshlrev_b32_e32 v14, 4, v14
	s_clause 0x5
	global_load_dwordx4 v[42:45], v14, s[12:13]
	global_load_dwordx4 v[46:49], v14, s[12:13] offset:16
	global_load_dwordx4 v[54:57], v14, s[12:13] offset:80
	;; [unrolled: 1-line block ×5, first 2 shown]
	v_add_nc_u16 v14, v85, 0x77
	v_and_b32_e32 v18, 0xff, v14
	v_mul_lo_u16 v18, 0xf1, v18
	v_lshrrev_b16 v52, 12, v18
	v_mul_lo_u16 v18, v52, 17
	v_sub_nc_u16 v53, v14, v18
	v_mul_u32_u24_sdwa v14, v53, v15 dst_sel:DWORD dst_unused:UNUSED_PAD src0_sel:BYTE_0 src1_sel:DWORD
	v_lshlrev_b32_e32 v14, 4, v14
	s_clause 0x5
	global_load_dwordx4 v[104:107], v14, s[12:13]
	global_load_dwordx4 v[108:111], v14, s[12:13] offset:16
	global_load_dwordx4 v[112:115], v14, s[12:13] offset:32
	;; [unrolled: 1-line block ×5, first 2 shown]
	s_waitcnt vmcnt(0) lgkmcnt(0)
	s_barrier
	buffer_gl0_inv
	v_mul_f64 v[14:15], v[2:3], v[44:45]
	v_mul_f64 v[18:19], v[8:9], v[48:49]
	;; [unrolled: 1-line block ×12, first 2 shown]
	v_fma_f64 v[14:15], v[70:71], v[42:43], -v[14:15]
	v_fma_f64 v[18:19], v[76:77], v[46:47], -v[18:19]
	;; [unrolled: 1-line block ×4, first 2 shown]
	v_fma_f64 v[2:3], v[2:3], v[42:43], v[38:39]
	v_fma_f64 v[26:27], v[8:9], v[46:47], v[30:31]
	v_fma_f64 v[8:9], v[78:79], v[62:63], -v[44:45]
	v_fma_f64 v[10:11], v[10:11], v[62:63], v[48:49]
	v_fma_f64 v[30:31], v[6:7], v[58:59], v[60:61]
	v_fma_f64 v[6:7], v[72:73], v[100:101], -v[50:51]
	v_fma_f64 v[4:5], v[4:5], v[100:101], v[64:65]
	v_fma_f64 v[34:35], v[34:35], v[54:55], v[56:57]
	v_mul_f64 v[66:67], v[96:97], v[110:111]
	v_mul_f64 v[70:71], v[94:95], v[114:115]
	;; [unrolled: 1-line block ×4, first 2 shown]
	v_add_f64 v[38:39], v[14:15], v[12:13]
	v_add_f64 v[42:43], v[18:19], v[22:23]
	v_mul_f64 v[76:77], v[24:25], v[122:123]
	v_mul_f64 v[78:79], v[90:91], v[122:123]
	;; [unrolled: 1-line block ×3, first 2 shown]
	v_add_f64 v[44:45], v[26:27], -v[30:31]
	v_add_f64 v[46:47], v[8:9], v[6:7]
	v_add_f64 v[48:49], v[4:5], -v[10:11]
	v_add_f64 v[50:51], v[2:3], -v[34:35]
	v_fma_f64 v[28:29], v[28:29], v[116:117], v[74:75]
	v_add_f64 v[54:55], v[42:43], v[38:39]
	v_add_f64 v[56:57], v[38:39], -v[46:47]
	v_add_f64 v[58:59], v[48:49], -v[44:45]
	;; [unrolled: 1-line block ×3, first 2 shown]
	v_add_f64 v[44:45], v[48:49], v[44:45]
	v_add_f64 v[48:49], v[50:51], -v[48:49]
	v_add_f64 v[38:39], v[42:43], -v[38:39]
	v_add_f64 v[54:55], v[46:47], v[54:55]
	v_add_f64 v[46:47], v[46:47], -v[42:43]
	v_mul_f64 v[56:57], v[56:57], s[4:5]
	v_mul_f64 v[58:59], v[58:59], s[8:9]
	;; [unrolled: 1-line block ×3, first 2 shown]
	v_add_f64 v[44:45], v[44:45], v[50:51]
	v_add_f64 v[64:65], v[68:69], v[54:55]
	v_mul_f64 v[42:43], v[46:47], s[14:15]
	v_mul_f64 v[68:69], v[32:33], v[114:115]
	;; [unrolled: 1-line block ×3, first 2 shown]
	v_fma_f64 v[46:47], v[46:47], s[14:15], v[56:57]
	v_fma_f64 v[50:51], v[48:49], s[22:23], v[58:59]
	v_fma_f64 v[58:59], v[60:61], s[6:7], -v[58:59]
	v_fma_f64 v[48:49], v[48:49], s[24:25], -v[62:63]
	;; [unrolled: 1-line block ×3, first 2 shown]
	v_mul_f64 v[60:61], v[98:99], v[106:107]
	v_mul_f64 v[62:63], v[36:37], v[110:111]
	v_fma_f64 v[54:55], v[54:55], s[16:17], v[64:65]
	v_fma_f64 v[38:39], v[38:39], s[18:19], -v[42:43]
	v_mul_f64 v[42:43], v[40:41], v[106:107]
	v_fma_f64 v[20:21], v[20:21], v[124:125], v[114:115]
	v_fma_f64 v[102:103], v[44:45], s[26:27], v[50:51]
	;; [unrolled: 1-line block ×5, first 2 shown]
	v_fma_f64 v[36:37], v[94:95], v[112:113], -v[68:69]
	v_fma_f64 v[48:49], v[90:91], v[120:121], -v[76:77]
	v_fma_f64 v[50:51], v[24:25], v[120:121], v[78:79]
	v_fma_f64 v[24:25], v[88:89], v[124:125], -v[100:101]
	v_add_f64 v[110:111], v[46:47], v[54:55]
	v_add_f64 v[56:57], v[56:57], v[54:55]
	;; [unrolled: 1-line block ×3, first 2 shown]
	v_fma_f64 v[38:39], v[98:99], v[104:105], -v[42:43]
	v_fma_f64 v[42:43], v[40:41], v[104:105], v[60:61]
	v_fma_f64 v[40:41], v[96:97], v[108:109], -v[62:63]
	v_fma_f64 v[46:47], v[32:33], v[112:113], v[70:71]
	v_fma_f64 v[32:33], v[92:93], v[116:117], -v[72:73]
	v_add_f64 v[60:61], v[102:103], v[110:111]
	v_add_f64 v[62:63], v[106:107], v[56:57]
	v_add_f64 v[66:67], v[54:55], -v[58:59]
	v_add_f64 v[58:59], v[58:59], v[54:55]
	v_add_f64 v[68:69], v[56:57], -v[106:107]
	v_add_f64 v[70:71], v[110:111], -v[102:103]
	v_mov_b32_e32 v55, 0x3b8
	v_mov_b32_e32 v56, 3
	v_mul_u32_u24_sdwa v54, v128, v55 dst_sel:DWORD dst_unused:UNUSED_PAD src0_sel:WORD_0 src1_sel:DWORD
	v_lshlrev_b32_sdwa v57, v56, v129 dst_sel:DWORD dst_unused:UNUSED_PAD src0_sel:DWORD src1_sel:BYTE_0
	v_add3_u32 v54, 0, v54, v57
	ds_write2_b64 v54, v[64:65], v[60:61] offset1:17
	ds_write2_b64 v54, v[62:63], v[66:67] offset0:34 offset1:51
	ds_write2_b64 v54, v[58:59], v[68:69] offset0:68 offset1:85
	ds_write_b64 v54, v[70:71] offset:816
	s_and_saveexec_b32 s1, s0
	s_cbranch_execz .LBB0_23
; %bb.22:
	v_add_f64 v[57:58], v[40:41], v[48:49]
	v_add_f64 v[59:60], v[38:39], v[24:25]
	v_add_f64 v[61:62], v[28:29], -v[46:47]
	v_add_f64 v[63:64], v[44:45], -v[50:51]
	v_add_f64 v[65:66], v[36:37], v[32:33]
	v_add_f64 v[67:68], v[42:43], -v[20:21]
	v_mul_u32_u24_sdwa v55, v52, v55 dst_sel:DWORD dst_unused:UNUSED_PAD src0_sel:WORD_0 src1_sel:DWORD
	v_lshlrev_b32_sdwa v56, v56, v53 dst_sel:DWORD dst_unused:UNUSED_PAD src0_sel:DWORD src1_sel:BYTE_0
	v_add3_u32 v55, 0, v55, v56
	v_add_f64 v[69:70], v[57:58], v[59:60]
	v_add_f64 v[71:72], v[61:62], -v[63:64]
	v_add_f64 v[73:74], v[59:60], -v[65:66]
	;; [unrolled: 1-line block ×3, first 2 shown]
	v_add_f64 v[63:64], v[61:62], v[63:64]
	v_add_f64 v[61:62], v[67:68], -v[61:62]
	v_add_f64 v[69:70], v[65:66], v[69:70]
	v_add_f64 v[65:66], v[65:66], -v[57:58]
	v_add_f64 v[57:58], v[57:58], -v[59:60]
	v_mul_f64 v[59:60], v[71:72], s[8:9]
	v_mul_f64 v[71:72], v[73:74], s[4:5]
	;; [unrolled: 1-line block ×3, first 2 shown]
	v_add_f64 v[63:64], v[63:64], v[67:68]
	v_add_f64 v[77:78], v[86:87], v[69:70]
	v_mul_f64 v[86:87], v[65:66], s[14:15]
	v_fma_f64 v[67:68], v[61:62], s[22:23], v[59:60]
	v_fma_f64 v[65:66], v[65:66], s[14:15], v[71:72]
	v_fma_f64 v[88:89], v[57:58], s[20:21], -v[71:72]
	v_fma_f64 v[61:62], v[61:62], s[24:25], -v[73:74]
	;; [unrolled: 1-line block ×3, first 2 shown]
	v_fma_f64 v[69:70], v[69:70], s[16:17], v[77:78]
	v_fma_f64 v[57:58], v[57:58], s[18:19], -v[86:87]
	v_fma_f64 v[67:68], v[63:64], s[26:27], v[67:68]
	v_fma_f64 v[61:62], v[63:64], s[26:27], v[61:62]
	;; [unrolled: 1-line block ×3, first 2 shown]
	v_add_f64 v[65:66], v[65:66], v[69:70]
	v_add_f64 v[63:64], v[88:89], v[69:70]
	;; [unrolled: 1-line block ×4, first 2 shown]
	v_add_f64 v[69:70], v[63:64], -v[61:62]
	v_add_f64 v[71:72], v[57:58], -v[59:60]
	v_add_f64 v[61:62], v[61:62], v[63:64]
	v_add_f64 v[57:58], v[59:60], v[57:58]
	v_add_f64 v[59:60], v[65:66], -v[67:68]
	ds_write2_b64 v55, v[77:78], v[73:74] offset1:17
	ds_write2_b64 v55, v[61:62], v[71:72] offset0:34 offset1:51
	ds_write2_b64 v55, v[57:58], v[69:70] offset0:68 offset1:85
	ds_write_b64 v55, v[59:60] offset:816
.LBB0_23:
	s_or_b32 exec_lo, exec_lo, s1
	v_add_f64 v[2:3], v[2:3], v[34:35]
	v_add_f64 v[26:27], v[26:27], v[30:31]
	v_add_f64 v[18:19], v[18:19], -v[22:23]
	v_add_f64 v[4:5], v[10:11], v[4:5]
	v_add_f64 v[6:7], v[6:7], -v[8:9]
	v_add_f64 v[8:9], v[14:15], -v[12:13]
	v_add_nc_u32_e32 v61, 0x1400, v162
	s_waitcnt lgkmcnt(0)
	s_barrier
	buffer_gl0_inv
	v_add_f64 v[10:11], v[26:27], v[2:3]
	v_add_f64 v[12:13], v[2:3], -v[4:5]
	v_add_f64 v[14:15], v[6:7], -v[18:19]
	;; [unrolled: 1-line block ×3, first 2 shown]
	v_add_f64 v[18:19], v[6:7], v[18:19]
	v_add_f64 v[6:7], v[8:9], -v[6:7]
	v_add_f64 v[10:11], v[4:5], v[10:11]
	v_add_f64 v[4:5], v[4:5], -v[26:27]
	v_mul_f64 v[12:13], v[12:13], s[4:5]
	v_mul_f64 v[14:15], v[14:15], s[8:9]
	v_mul_f64 v[30:31], v[22:23], s[6:7]
	v_add_f64 v[8:9], v[18:19], v[8:9]
	v_add_f64 v[34:35], v[0:1], v[10:11]
	v_add_f64 v[0:1], v[26:27], -v[2:3]
	v_mul_f64 v[2:3], v[4:5], s[14:15]
	v_fma_f64 v[4:5], v[4:5], s[14:15], v[12:13]
	v_fma_f64 v[18:19], v[6:7], s[22:23], v[14:15]
	v_fma_f64 v[14:15], v[22:23], s[6:7], -v[14:15]
	v_fma_f64 v[6:7], v[6:7], s[24:25], -v[30:31]
	v_fma_f64 v[10:11], v[10:11], s[16:17], v[34:35]
	v_fma_f64 v[12:13], v[0:1], s[20:21], -v[12:13]
	v_fma_f64 v[0:1], v[0:1], s[18:19], -v[2:3]
	v_fma_f64 v[22:23], v[8:9], s[26:27], v[18:19]
	v_fma_f64 v[14:15], v[8:9], s[26:27], v[14:15]
	;; [unrolled: 1-line block ×3, first 2 shown]
	ds_read_b64 v[18:19], v162 offset:7616
	v_add_f64 v[4:5], v[4:5], v[10:11]
	v_add_f64 v[8:9], v[12:13], v[10:11]
	;; [unrolled: 1-line block ×3, first 2 shown]
	v_add_nc_u32_e32 v12, 0x400, v162
	v_add_nc_u32_e32 v13, 0xc00, v162
	ds_read2_b64 v[0:3], v162 offset1:119
	v_add_f64 v[26:27], v[4:5], -v[22:23]
	v_add_f64 v[30:31], v[8:9], -v[6:7]
	v_add_f64 v[55:56], v[14:15], v[10:11]
	v_add_f64 v[57:58], v[10:11], -v[14:15]
	v_add_f64 v[59:60], v[6:7], v[8:9]
	v_add_f64 v[22:23], v[22:23], v[4:5]
	ds_read2_b64 v[4:7], v12 offset0:110 offset1:229
	ds_read2_b64 v[12:15], v13 offset0:92 offset1:211
	;; [unrolled: 1-line block ×3, first 2 shown]
	s_waitcnt lgkmcnt(0)
	s_barrier
	buffer_gl0_inv
	ds_write2_b64 v54, v[34:35], v[26:27] offset1:17
	ds_write2_b64 v54, v[30:31], v[55:56] offset0:34 offset1:51
	ds_write2_b64 v54, v[57:58], v[59:60] offset0:68 offset1:85
	ds_write_b64 v54, v[22:23] offset:816
	s_and_saveexec_b32 s1, s0
	s_cbranch_execz .LBB0_25
; %bb.24:
	v_add_f64 v[20:21], v[42:43], v[20:21]
	v_add_f64 v[22:23], v[44:45], v[50:51]
	;; [unrolled: 1-line block ×3, first 2 shown]
	v_add_f64 v[28:29], v[40:41], -v[48:49]
	v_add_f64 v[30:31], v[32:33], -v[36:37]
	v_add_f64 v[24:25], v[38:39], -v[24:25]
	s_mov_b32 s6, 0x36b3c0b5
	s_mov_b32 s7, 0x3fac98ee
	;; [unrolled: 1-line block ×6, first 2 shown]
	v_add_f64 v[32:33], v[22:23], v[20:21]
	v_add_f64 v[34:35], v[20:21], -v[26:27]
	v_add_f64 v[36:37], v[26:27], -v[22:23]
	;; [unrolled: 1-line block ×5, first 2 shown]
	v_add_f64 v[22:23], v[30:31], v[28:29]
	v_add_f64 v[28:29], v[24:25], -v[30:31]
	v_add_f64 v[26:27], v[26:27], v[32:33]
	v_mul_f64 v[30:31], v[34:35], s[4:5]
	s_mov_b32 s4, 0x429ad128
	v_mul_f64 v[32:33], v[36:37], s[6:7]
	v_mul_f64 v[34:35], v[38:39], s[8:9]
	s_mov_b32 s5, 0x3febfeb5
	s_mov_b32 s8, 0xaaaaaaaa
	v_mul_f64 v[38:39], v[40:41], s[4:5]
	s_mov_b32 s9, 0xbff2aaaa
	v_add_f64 v[22:23], v[22:23], v[24:25]
	v_add_f64 v[16:17], v[16:17], v[26:27]
	v_fma_f64 v[24:25], v[36:37], s[6:7], v[30:31]
	v_fma_f64 v[32:33], v[20:21], s[14:15], -v[32:33]
	s_mov_b32 s15, 0xbfe77f67
	v_fma_f64 v[36:37], v[28:29], s[16:17], v[34:35]
	s_mov_b32 s17, 0xbfd5d0dc
	v_fma_f64 v[34:35], v[40:41], s[4:5], -v[34:35]
	v_fma_f64 v[28:29], v[28:29], s[16:17], -v[38:39]
	;; [unrolled: 1-line block ×3, first 2 shown]
	s_mov_b32 s4, 0x37c3f68c
	s_mov_b32 s5, 0x3fdc38aa
	v_fma_f64 v[26:27], v[26:27], s[8:9], v[16:17]
	v_fma_f64 v[30:31], v[22:23], s[4:5], v[36:37]
	;; [unrolled: 1-line block ×4, first 2 shown]
	v_add_f64 v[24:25], v[24:25], v[26:27]
	v_add_f64 v[20:21], v[20:21], v[26:27]
	;; [unrolled: 1-line block ×3, first 2 shown]
	v_add_f64 v[28:29], v[24:25], -v[30:31]
	v_add_f64 v[32:33], v[20:21], -v[22:23]
	v_add_f64 v[36:37], v[34:35], v[26:27]
	v_add_f64 v[26:27], v[26:27], -v[34:35]
	v_add_f64 v[20:21], v[22:23], v[20:21]
	v_add_f64 v[22:23], v[30:31], v[24:25]
	v_mov_b32_e32 v24, 0x3b8
	v_mov_b32_e32 v25, 3
	v_mul_u32_u24_sdwa v24, v52, v24 dst_sel:DWORD dst_unused:UNUSED_PAD src0_sel:WORD_0 src1_sel:DWORD
	v_lshlrev_b32_sdwa v25, v25, v53 dst_sel:DWORD dst_unused:UNUSED_PAD src0_sel:DWORD src1_sel:BYTE_0
	v_add3_u32 v24, 0, v24, v25
	ds_write2_b64 v24, v[16:17], v[28:29] offset1:17
	ds_write2_b64 v24, v[32:33], v[36:37] offset0:34 offset1:51
	ds_write2_b64 v24, v[26:27], v[20:21] offset0:68 offset1:85
	ds_write_b64 v24, v[22:23] offset:816
.LBB0_25:
	s_or_b32 exec_lo, exec_lo, s1
	s_waitcnt lgkmcnt(0)
	s_barrier
	buffer_gl0_inv
	s_and_saveexec_b32 s0, vcc_lo
	s_cbranch_execz .LBB0_27
; %bb.26:
	v_lshlrev_b32_e32 v16, 3, v85
	v_mov_b32_e32 v17, 0
	v_add_nc_u32_e32 v60, 0x1400, v162
	s_mov_b32 s0, 0x8c811c17
	s_mov_b32 s1, 0x3fef838b
	;; [unrolled: 1-line block ×3, first 2 shown]
	v_lshlrev_b64 v[20:21], 4, v[16:17]
	v_add_nc_u32_e32 v16, 0xc00, v162
	s_mov_b32 s7, 0x3fe8836f
	s_mov_b32 s5, 0xbfe491b7
	;; [unrolled: 1-line block ×3, first 2 shown]
	v_mul_lo_u32 v83, s2, v83
	v_add_co_u32 v48, vcc_lo, s12, v20
	v_add_co_ci_u32_e32 v49, vcc_lo, s13, v21, vcc_lo
	s_mov_b32 s9, 0xbfebb67a
	s_clause 0x7
	global_load_dwordx4 v[20:23], v[48:49], off offset:1680
	global_load_dwordx4 v[24:27], v[48:49], off offset:1696
	;; [unrolled: 1-line block ×8, first 2 shown]
	ds_read2_b64 v[52:55], v16 offset0:92 offset1:211
	v_add_nc_u32_e32 v16, 0x400, v162
	ds_read2_b64 v[56:59], v16 offset0:110 offset1:229
	ds_read2_b64 v[60:63], v60 offset0:74 offset1:193
	ds_read2_b64 v[64:67], v162 offset1:119
	ds_read_b64 v[68:69], v162 offset:7616
	v_mul_lo_u32 v16, s3, v82
	s_waitcnt vmcnt(7) lgkmcnt(4)
	v_mul_f64 v[70:71], v[52:53], v[22:23]
	s_waitcnt vmcnt(6)
	v_mul_f64 v[72:73], v[54:55], v[26:27]
	v_mul_f64 v[22:23], v[12:13], v[22:23]
	;; [unrolled: 1-line block ×3, first 2 shown]
	s_waitcnt vmcnt(5) lgkmcnt(3)
	v_mul_f64 v[74:75], v[56:57], v[30:31]
	s_waitcnt vmcnt(4) lgkmcnt(2)
	v_mul_f64 v[76:77], v[62:63], v[34:35]
	v_mul_f64 v[30:31], v[4:5], v[30:31]
	;; [unrolled: 1-line block ×3, first 2 shown]
	s_waitcnt vmcnt(3) lgkmcnt(1)
	v_mul_f64 v[78:79], v[66:67], v[38:39]
	v_mul_f64 v[38:39], v[2:3], v[38:39]
	s_waitcnt vmcnt(2)
	v_mul_f64 v[85:86], v[18:19], v[42:43]
	s_waitcnt lgkmcnt(0)
	v_mul_f64 v[42:43], v[68:69], v[42:43]
	v_fma_f64 v[12:13], v[12:13], v[20:21], -v[70:71]
	v_fma_f64 v[14:15], v[14:15], v[24:25], -v[72:73]
	v_fma_f64 v[20:21], v[20:21], v[52:53], v[22:23]
	v_fma_f64 v[22:23], v[24:25], v[54:55], v[26:27]
	s_waitcnt vmcnt(1)
	v_mul_f64 v[24:25], v[58:59], v[46:47]
	v_mul_f64 v[46:47], v[6:7], v[46:47]
	v_fma_f64 v[4:5], v[4:5], v[28:29], -v[74:75]
	v_fma_f64 v[10:11], v[10:11], v[32:33], -v[76:77]
	v_fma_f64 v[28:29], v[28:29], v[56:57], v[30:31]
	v_fma_f64 v[30:31], v[32:33], v[62:63], v[34:35]
	s_waitcnt vmcnt(0)
	v_mul_f64 v[26:27], v[60:61], v[50:51]
	v_mul_f64 v[50:51], v[8:9], v[50:51]
	v_fma_f64 v[2:3], v[2:3], v[36:37], -v[78:79]
	v_fma_f64 v[32:33], v[36:37], v[66:67], v[38:39]
	v_fma_f64 v[34:35], v[40:41], v[68:69], v[85:86]
	v_fma_f64 v[18:19], v[18:19], v[40:41], -v[42:43]
	v_mad_u64_u32 v[78:79], null, s2, v82, 0
	s_mov_b32 s2, 0xe8584cab
	s_mov_b32 s3, 0x3febb67a
	;; [unrolled: 1-line block ×3, first 2 shown]
	v_add_f64 v[36:37], v[12:13], -v[14:15]
	v_add3_u32 v79, v79, v83, v16
	v_add_f64 v[38:39], v[20:21], -v[22:23]
	v_fma_f64 v[6:7], v[6:7], v[44:45], -v[24:25]
	v_fma_f64 v[24:25], v[44:45], v[58:59], v[46:47]
	v_add_f64 v[40:41], v[20:21], v[22:23]
	v_add_f64 v[44:45], v[4:5], v[10:11]
	v_add_f64 v[4:5], v[4:5], -v[10:11]
	v_add_f64 v[42:43], v[28:29], v[30:31]
	v_fma_f64 v[8:9], v[8:9], v[48:49], -v[26:27]
	v_fma_f64 v[26:27], v[48:49], v[60:61], v[50:51]
	v_add_f64 v[28:29], v[28:29], -v[30:31]
	v_add_f64 v[10:11], v[12:13], v[14:15]
	v_add_f64 v[46:47], v[32:33], v[34:35]
	;; [unrolled: 1-line block ×3, first 2 shown]
	v_add_f64 v[2:3], v[2:3], -v[18:19]
	v_add_f64 v[18:19], v[32:33], -v[34:35]
	v_mul_f64 v[30:31], v[36:37], s[0:1]
	v_mul_f64 v[62:63], v[36:37], s[4:5]
	;; [unrolled: 1-line block ×4, first 2 shown]
	v_fma_f64 v[60:61], v[40:41], s[6:7], v[64:65]
	v_fma_f64 v[54:55], v[44:45], s[6:7], v[0:1]
	;; [unrolled: 1-line block ×3, first 2 shown]
	v_add_f64 v[34:35], v[6:7], v[8:9]
	v_add_f64 v[32:33], v[24:25], v[26:27]
	v_add_f64 v[6:7], v[6:7], -v[8:9]
	v_fma_f64 v[68:69], v[10:11], s[6:7], v[0:1]
	v_add_f64 v[56:57], v[42:43], v[46:47]
	v_add_f64 v[58:59], v[44:45], v[48:49]
	v_fma_f64 v[70:71], v[46:47], s[6:7], v[64:65]
	v_fma_f64 v[72:73], v[48:49], s[6:7], v[0:1]
	s_mov_b32 s6, 0x7e0b738b
	s_mov_b32 s7, 0x3fc63a1a
	v_add_f64 v[24:25], v[24:25], -v[26:27]
	v_add_f64 v[82:83], v[36:37], v[2:3]
	v_add_f64 v[87:88], v[38:39], v[18:19]
	v_fma_f64 v[30:31], v[4:5], s[4:5], -v[30:31]
	v_fma_f64 v[62:63], v[2:3], s[0:1], v[62:63]
	v_fma_f64 v[50:51], v[28:29], s[4:5], -v[50:51]
	s_mov_b32 s5, 0x3fe491b7
	v_fma_f64 v[66:67], v[18:19], s[0:1], v[66:67]
	v_mul_f64 v[74:75], v[2:3], s[4:5]
	v_mul_f64 v[76:77], v[18:19], s[4:5]
	v_fma_f64 v[26:27], v[10:11], s[6:7], v[54:55]
	v_fma_f64 v[8:9], v[40:41], s[6:7], v[52:53]
	;; [unrolled: 1-line block ×3, first 2 shown]
	v_add_f64 v[85:86], v[32:33], v[64:65]
	v_add_f64 v[89:90], v[0:1], v[34:35]
	v_fma_f64 v[68:69], v[48:49], s[6:7], v[68:69]
	v_add_f64 v[52:53], v[32:33], v[56:57]
	v_add_f64 v[54:55], v[34:35], v[58:59]
	v_fma_f64 v[70:71], v[42:43], s[6:7], v[70:71]
	v_fma_f64 v[72:73], v[44:45], s[6:7], v[72:73]
	v_add_f64 v[56:57], v[40:41], v[56:57]
	v_add_f64 v[58:59], v[10:11], v[58:59]
	s_mov_b32 s4, 0x748a0bf8
	s_mov_b32 s5, 0x3fd5e3a8
	v_fma_f64 v[30:31], v[6:7], s[2:3], v[30:31]
	v_fma_f64 v[50:51], v[24:25], s[2:3], v[50:51]
	v_fma_f64 v[74:75], v[4:5], s[0:1], v[74:75]
	v_fma_f64 v[76:77], v[28:29], s[0:1], v[76:77]
	v_fma_f64 v[26:27], v[34:35], -0.5, v[26:27]
	v_fma_f64 v[8:9], v[32:33], -0.5, v[8:9]
	s_mov_b32 s0, 0x42522d1b
	s_mov_b32 s1, 0xbfee11f6
	v_add_f64 v[20:21], v[20:21], v[52:53]
	v_add_f64 v[12:13], v[12:13], v[54:55]
	v_fma_f64 v[52:53], v[32:33], -0.5, v[60:61]
	v_fma_f64 v[54:55], v[6:7], s[8:9], v[62:63]
	v_fma_f64 v[60:61], v[24:25], s[8:9], v[66:67]
	v_fma_f64 v[62:63], v[34:35], -0.5, v[68:69]
	v_fma_f64 v[32:33], v[32:33], -0.5, v[70:71]
	;; [unrolled: 1-line block ×3, first 2 shown]
	v_add_f64 v[70:71], v[82:83], -v[4:5]
	v_add_f64 v[72:73], v[87:88], -v[28:29]
	v_fma_f64 v[56:57], v[56:57], -0.5, v[85:86]
	v_fma_f64 v[58:59], v[58:59], -0.5, v[89:90]
	v_fma_f64 v[30:31], v[2:3], s[4:5], v[30:31]
	v_lshlrev_b64 v[68:69], 4, v[78:79]
	v_fma_f64 v[6:7], v[6:7], s[2:3], v[74:75]
	v_fma_f64 v[24:25], v[24:25], s[2:3], v[76:77]
	v_lshlrev_b64 v[66:67], 4, v[80:81]
	v_fma_f64 v[8:9], v[46:47], s[0:1], v[8:9]
	v_fma_f64 v[46:47], v[18:19], s[4:5], v[50:51]
	;; [unrolled: 1-line block ×3, first 2 shown]
	v_add_co_u32 v2, vcc_lo, s10, v68
	v_add_f64 v[20:21], v[22:23], v[20:21]
	v_add_f64 v[14:15], v[14:15], v[12:13]
	v_fma_f64 v[22:23], v[42:43], s[0:1], v[52:53]
	v_fma_f64 v[26:27], v[4:5], s[4:5], v[54:55]
	;; [unrolled: 1-line block ×6, first 2 shown]
	v_add_co_ci_u32_e32 v3, vcc_lo, s11, v69, vcc_lo
	v_add_co_u32 v48, vcc_lo, v2, v66
	v_mov_b32_e32 v85, v17
	v_add_co_ci_u32_e32 v49, vcc_lo, v3, v67, vcc_lo
	v_fma_f64 v[36:37], v[36:37], s[4:5], v[6:7]
	v_fma_f64 v[38:39], v[38:39], s[4:5], v[24:25]
	v_mul_f64 v[44:45], v[72:73], s[2:3]
	v_fma_f64 v[4:5], v[70:71], s[8:9], v[56:57]
	v_fma_f64 v[2:3], v[72:73], s[2:3], v[58:59]
	v_add_f64 v[8:9], v[8:9], -v[30:31]
	v_add_f64 v[6:7], v[46:47], v[18:19]
	v_mul_f64 v[40:41], v[70:71], s[2:3]
	v_add_f64 v[10:11], v[0:1], v[14:15]
	v_add_f64 v[12:13], v[64:65], v[20:21]
	v_add_f64 v[16:17], v[22:23], -v[26:27]
	v_lshlrev_b64 v[24:25], 4, v[84:85]
	v_add_f64 v[14:15], v[42:43], v[28:29]
	v_add_f64 v[20:21], v[32:33], -v[36:37]
	v_add_f64 v[18:19], v[38:39], v[34:35]
	v_add_co_u32 v32, vcc_lo, v48, v24
	v_add_co_ci_u32_e32 v33, vcc_lo, v49, v25, vcc_lo
	v_fma_f64 v[22:23], v[44:45], -2.0, v[2:3]
	v_add_co_u32 v0, vcc_lo, 0x1000, v32
	v_add_co_ci_u32_e32 v1, vcc_lo, 0, v33, vcc_lo
	v_add_co_u32 v34, vcc_lo, 0x800, v32
	v_add_co_ci_u32_e32 v35, vcc_lo, 0, v33, vcc_lo
	global_store_dwordx4 v[0:1], v[2:5], off offset:1616
	v_fma_f64 v[2:3], v[30:31], 2.0, v[8:9]
	v_fma_f64 v[0:1], v[46:47], -2.0, v[6:7]
	v_fma_f64 v[24:25], v[40:41], 2.0, v[4:5]
	v_fma_f64 v[28:29], v[26:27], 2.0, v[16:17]
	v_fma_f64 v[26:27], v[42:43], -2.0, v[14:15]
	global_store_dwordx4 v[32:33], v[10:13], off
	global_store_dwordx4 v[34:35], v[14:17], off offset:1760
	v_fma_f64 v[12:13], v[36:37], 2.0, v[20:21]
	v_fma_f64 v[10:11], v[38:39], -2.0, v[18:19]
	v_add_co_u32 v4, vcc_lo, 0x1800, v32
	v_add_co_ci_u32_e32 v5, vcc_lo, 0, v33, vcc_lo
	v_add_co_u32 v14, vcc_lo, 0x2000, v32
	v_add_co_ci_u32_e32 v15, vcc_lo, 0, v33, vcc_lo
	;; [unrolled: 2-line block ×3, first 2 shown]
	global_store_dwordx4 v[32:33], v[18:21], off offset:1904
	v_add_co_u32 v18, vcc_lo, 0x3000, v32
	v_add_co_ci_u32_e32 v19, vcc_lo, 0, v33, vcc_lo
	v_add_co_u32 v20, vcc_lo, 0x3800, v32
	v_add_co_ci_u32_e32 v21, vcc_lo, 0, v33, vcc_lo
	global_store_dwordx4 v[4:5], v[6:9], off offset:1472
	global_store_dwordx4 v[14:15], v[0:3], off offset:1328
	global_store_dwordx4 v[16:17], v[22:25], off offset:1184
	global_store_dwordx4 v[18:19], v[26:29], off offset:1040
	global_store_dwordx4 v[20:21], v[10:13], off offset:896
.LBB0_27:
	s_endpgm
	.section	.rodata,"a",@progbits
	.p2align	6, 0x0
	.amdhsa_kernel fft_rtc_fwd_len1071_factors_17_7_9_wgs_119_tpt_119_halfLds_dp_op_CI_CI_unitstride_sbrr_dirReg
		.amdhsa_group_segment_fixed_size 0
		.amdhsa_private_segment_fixed_size 0
		.amdhsa_kernarg_size 104
		.amdhsa_user_sgpr_count 6
		.amdhsa_user_sgpr_private_segment_buffer 1
		.amdhsa_user_sgpr_dispatch_ptr 0
		.amdhsa_user_sgpr_queue_ptr 0
		.amdhsa_user_sgpr_kernarg_segment_ptr 1
		.amdhsa_user_sgpr_dispatch_id 0
		.amdhsa_user_sgpr_flat_scratch_init 0
		.amdhsa_user_sgpr_private_segment_size 0
		.amdhsa_wavefront_size32 1
		.amdhsa_uses_dynamic_stack 0
		.amdhsa_system_sgpr_private_segment_wavefront_offset 0
		.amdhsa_system_sgpr_workgroup_id_x 1
		.amdhsa_system_sgpr_workgroup_id_y 0
		.amdhsa_system_sgpr_workgroup_id_z 0
		.amdhsa_system_sgpr_workgroup_info 0
		.amdhsa_system_vgpr_workitem_id 0
		.amdhsa_next_free_vgpr 226
		.amdhsa_next_free_sgpr 58
		.amdhsa_reserve_vcc 1
		.amdhsa_reserve_flat_scratch 0
		.amdhsa_float_round_mode_32 0
		.amdhsa_float_round_mode_16_64 0
		.amdhsa_float_denorm_mode_32 3
		.amdhsa_float_denorm_mode_16_64 3
		.amdhsa_dx10_clamp 1
		.amdhsa_ieee_mode 1
		.amdhsa_fp16_overflow 0
		.amdhsa_workgroup_processor_mode 1
		.amdhsa_memory_ordered 1
		.amdhsa_forward_progress 0
		.amdhsa_shared_vgpr_count 0
		.amdhsa_exception_fp_ieee_invalid_op 0
		.amdhsa_exception_fp_denorm_src 0
		.amdhsa_exception_fp_ieee_div_zero 0
		.amdhsa_exception_fp_ieee_overflow 0
		.amdhsa_exception_fp_ieee_underflow 0
		.amdhsa_exception_fp_ieee_inexact 0
		.amdhsa_exception_int_div_zero 0
	.end_amdhsa_kernel
	.text
.Lfunc_end0:
	.size	fft_rtc_fwd_len1071_factors_17_7_9_wgs_119_tpt_119_halfLds_dp_op_CI_CI_unitstride_sbrr_dirReg, .Lfunc_end0-fft_rtc_fwd_len1071_factors_17_7_9_wgs_119_tpt_119_halfLds_dp_op_CI_CI_unitstride_sbrr_dirReg
                                        ; -- End function
	.section	.AMDGPU.csdata,"",@progbits
; Kernel info:
; codeLenInByte = 13104
; NumSgprs: 60
; NumVgprs: 226
; ScratchSize: 0
; MemoryBound: 1
; FloatMode: 240
; IeeeMode: 1
; LDSByteSize: 0 bytes/workgroup (compile time only)
; SGPRBlocks: 7
; VGPRBlocks: 28
; NumSGPRsForWavesPerEU: 60
; NumVGPRsForWavesPerEU: 226
; Occupancy: 4
; WaveLimiterHint : 1
; COMPUTE_PGM_RSRC2:SCRATCH_EN: 0
; COMPUTE_PGM_RSRC2:USER_SGPR: 6
; COMPUTE_PGM_RSRC2:TRAP_HANDLER: 0
; COMPUTE_PGM_RSRC2:TGID_X_EN: 1
; COMPUTE_PGM_RSRC2:TGID_Y_EN: 0
; COMPUTE_PGM_RSRC2:TGID_Z_EN: 0
; COMPUTE_PGM_RSRC2:TIDIG_COMP_CNT: 0
	.text
	.p2alignl 6, 3214868480
	.fill 48, 4, 3214868480
	.type	__hip_cuid_3f867abba690df96,@object ; @__hip_cuid_3f867abba690df96
	.section	.bss,"aw",@nobits
	.globl	__hip_cuid_3f867abba690df96
__hip_cuid_3f867abba690df96:
	.byte	0                               ; 0x0
	.size	__hip_cuid_3f867abba690df96, 1

	.ident	"AMD clang version 19.0.0git (https://github.com/RadeonOpenCompute/llvm-project roc-6.4.0 25133 c7fe45cf4b819c5991fe208aaa96edf142730f1d)"
	.section	".note.GNU-stack","",@progbits
	.addrsig
	.addrsig_sym __hip_cuid_3f867abba690df96
	.amdgpu_metadata
---
amdhsa.kernels:
  - .args:
      - .actual_access:  read_only
        .address_space:  global
        .offset:         0
        .size:           8
        .value_kind:     global_buffer
      - .offset:         8
        .size:           8
        .value_kind:     by_value
      - .actual_access:  read_only
        .address_space:  global
        .offset:         16
        .size:           8
        .value_kind:     global_buffer
      - .actual_access:  read_only
        .address_space:  global
        .offset:         24
        .size:           8
        .value_kind:     global_buffer
      - .actual_access:  read_only
        .address_space:  global
        .offset:         32
        .size:           8
        .value_kind:     global_buffer
      - .offset:         40
        .size:           8
        .value_kind:     by_value
      - .actual_access:  read_only
        .address_space:  global
        .offset:         48
        .size:           8
        .value_kind:     global_buffer
      - .actual_access:  read_only
        .address_space:  global
        .offset:         56
        .size:           8
        .value_kind:     global_buffer
      - .offset:         64
        .size:           4
        .value_kind:     by_value
      - .actual_access:  read_only
        .address_space:  global
        .offset:         72
        .size:           8
        .value_kind:     global_buffer
      - .actual_access:  read_only
        .address_space:  global
        .offset:         80
        .size:           8
        .value_kind:     global_buffer
      - .actual_access:  read_only
        .address_space:  global
        .offset:         88
        .size:           8
        .value_kind:     global_buffer
      - .actual_access:  write_only
        .address_space:  global
        .offset:         96
        .size:           8
        .value_kind:     global_buffer
    .group_segment_fixed_size: 0
    .kernarg_segment_align: 8
    .kernarg_segment_size: 104
    .language:       OpenCL C
    .language_version:
      - 2
      - 0
    .max_flat_workgroup_size: 119
    .name:           fft_rtc_fwd_len1071_factors_17_7_9_wgs_119_tpt_119_halfLds_dp_op_CI_CI_unitstride_sbrr_dirReg
    .private_segment_fixed_size: 0
    .sgpr_count:     60
    .sgpr_spill_count: 0
    .symbol:         fft_rtc_fwd_len1071_factors_17_7_9_wgs_119_tpt_119_halfLds_dp_op_CI_CI_unitstride_sbrr_dirReg.kd
    .uniform_work_group_size: 1
    .uses_dynamic_stack: false
    .vgpr_count:     226
    .vgpr_spill_count: 0
    .wavefront_size: 32
    .workgroup_processor_mode: 1
amdhsa.target:   amdgcn-amd-amdhsa--gfx1030
amdhsa.version:
  - 1
  - 2
...

	.end_amdgpu_metadata
